;; amdgpu-corpus repo=zjin-lcf/HeCBench kind=compiled arch=gfx906 opt=O3
	.amdgcn_target "amdgcn-amd-amdhsa--gfx906"
	.amdhsa_code_object_version 6
	.text
	.protected	_Z17intt_3_64k_modcrtPjPKm ; -- Begin function _Z17intt_3_64k_modcrtPjPKm
	.globl	_Z17intt_3_64k_modcrtPjPKm
	.p2align	8
	.type	_Z17intt_3_64k_modcrtPjPKm,@function
_Z17intt_3_64k_modcrtPjPKm:             ; @_Z17intt_3_64k_modcrtPjPKm
; %bb.0:
	s_load_dwordx2 s[0:1], s[4:5], 0x8
	v_lshlrev_b32_e32 v30, 3, v0
	s_lshl_b32 s18, s6, 9
	v_and_b32_e32 v1, 0x1f0, v30
	v_and_b32_e32 v32, 1, v0
	v_or3_b32 v1, v32, v1, s18
	v_mov_b32_e32 v2, 0
	v_lshlrev_b64 v[1:2], 3, v[1:2]
	s_waitcnt lgkmcnt(0)
	v_mov_b32_e32 v3, s1
	v_add_co_u32_e32 v9, vcc, s0, v1
	v_addc_co_u32_e32 v10, vcc, v3, v2, vcc
	global_load_dwordx2 v[5:6], v[9:10], off offset:96
	global_load_dwordx2 v[7:8], v[9:10], off offset:32
	global_load_dwordx2 v[3:4], v[9:10], off
	global_load_dwordx2 v[17:18], v[9:10], off offset:16
	global_load_dwordx2 v[13:14], v[9:10], off offset:48
	;; [unrolled: 1-line block ×5, first 2 shown]
	s_mov_b64 s[2:3], -1
	s_waitcnt vmcnt(6)
	v_sub_co_u32_e32 v9, vcc, v7, v5
	v_subb_co_u32_e32 v10, vcc, v8, v6, vcc
	v_add_co_u32_e32 v19, vcc, 1, v9
	v_addc_co_u32_e32 v20, vcc, -1, v10, vcc
	v_cmp_lt_u64_e32 vcc, v[7:8], v[5:6]
	v_cndmask_b32_e32 v10, v10, v20, vcc
	v_cndmask_b32_e32 v9, v9, v19, vcc
	v_alignbit_b32 v23, v10, v9, 16
	v_lshlrev_b32_e32 v9, 16, v9
	v_add_co_u32_e32 v19, vcc, v23, v9
	v_addc_co_u32_e64 v20, s[0:1], 0, 0, vcc
	v_sub_co_u32_e32 v21, vcc, 0, v23
	s_xor_b64 s[0:1], vcc, -1
	v_cmp_ne_u32_e32 vcc, 0, v19
	v_mov_b32_e32 v22, v19
	s_or_b64 s[6:7], s[0:1], vcc
	v_mov_b32_e32 v9, -1
	s_and_saveexec_b64 s[0:1], s[6:7]
	s_cbranch_execz .LBB0_6
; %bb.1:
	s_mov_b64 s[2:3], 0xffffffff
	v_cmp_lt_u64_e32 vcc, s[2:3], v[19:20]
	s_mov_b64 s[6:7], 0
	s_and_saveexec_b64 s[2:3], vcc
	s_cbranch_execz .LBB0_5
; %bb.2:
	v_cmp_ne_u32_e32 vcc, 0, v23
	v_mov_b32_e32 v21, -1
	s_and_saveexec_b64 s[8:9], vcc
; %bb.3:
	s_mov_b64 s[6:7], exec
	v_not_b32_e32 v21, v23
	v_add_u32_e32 v22, 1, v19
; %bb.4:
	s_or_b64 exec, exec, s[8:9]
	s_and_b64 s[6:7], s[6:7], exec
.LBB0_5:
	s_or_b64 exec, exec, s[2:3]
	s_orn2_b64 s[2:3], s[6:7], exec
	v_mov_b32_e32 v9, v22
.LBB0_6:
	s_or_b64 exec, exec, s[0:1]
	s_and_saveexec_b64 s[0:1], s[2:3]
; %bb.7:
	v_mov_b32_e32 v20, v10
	v_mov_b32_e32 v19, v9
; %bb.8:
	s_or_b64 exec, exec, s[0:1]
	v_cmp_ge_u32_sdwa s[0:1], v21, v10 src0_sel:DWORD src1_sel:WORD_1
	v_cmp_ne_u32_e32 vcc, 0, v9
	s_or_b64 s[0:1], s[0:1], vcc
	v_sub_u32_sdwa v31, v21, v10 dst_sel:DWORD dst_unused:UNUSED_PAD src0_sel:DWORD src1_sel:WORD_1
                                        ; implicit-def: $vgpr9_vgpr10
	s_and_saveexec_b64 s[2:3], s[0:1]
	s_xor_b64 s[0:1], exec, s[2:3]
; %bb.9:
	v_mov_b32_e32 v9, 0
	v_mov_b32_e32 v10, v19
; %bb.10:
	s_andn2_saveexec_b64 s[0:1], s[0:1]
; %bb.11:
	v_add_co_u32_e32 v31, vcc, 1, v31
	v_cndmask_b32_e64 v10, -2, -1, vcc
	v_mov_b32_e32 v9, 0
; %bb.12:
	s_or_b64 exec, exec, s[0:1]
	s_waitcnt vmcnt(0)
	v_sub_co_u32_e32 v19, vcc, v13, v11
	v_subb_co_u32_e32 v20, vcc, v14, v12, vcc
	v_add_co_u32_e32 v21, vcc, 1, v19
	v_addc_co_u32_e32 v22, vcc, -1, v20, vcc
	v_cmp_lt_u64_e32 vcc, v[13:14], v[11:12]
	s_mov_b64 s[2:3], -1
	v_cndmask_b32_e32 v22, v20, v22, vcc
	v_cndmask_b32_e32 v19, v19, v21, vcc
	v_alignbit_b32 v24, v22, v19, 16
	v_lshlrev_b32_e32 v19, 16, v19
	v_add_co_u32_e32 v19, vcc, v24, v19
	v_addc_co_u32_e64 v20, s[0:1], 0, 0, vcc
	v_sub_co_u32_e32 v23, vcc, 0, v24
	s_xor_b64 s[0:1], vcc, -1
	v_cmp_ne_u32_e32 vcc, 0, v19
	s_or_b64 s[6:7], s[0:1], vcc
	v_mov_b32_e32 v21, -1
	s_and_saveexec_b64 s[0:1], s[6:7]
	s_cbranch_execz .LBB0_18
; %bb.13:
	s_mov_b64 s[2:3], 0xffffffff
	v_cmp_lt_u64_e32 vcc, s[2:3], v[19:20]
	s_mov_b64 s[6:7], 0
	v_mov_b32_e32 v21, v19
	s_and_saveexec_b64 s[2:3], vcc
	s_cbranch_execz .LBB0_17
; %bb.14:
	v_cmp_ne_u32_e32 vcc, 0, v24
	v_mov_b32_e32 v23, -1
	v_mov_b32_e32 v21, v19
	s_and_saveexec_b64 s[8:9], vcc
; %bb.15:
	s_mov_b64 s[6:7], exec
	v_not_b32_e32 v23, v24
	v_add_u32_e32 v21, 1, v19
; %bb.16:
	s_or_b64 exec, exec, s[8:9]
	s_and_b64 s[6:7], s[6:7], exec
.LBB0_17:
	s_or_b64 exec, exec, s[2:3]
	s_orn2_b64 s[2:3], s[6:7], exec
.LBB0_18:
	s_or_b64 exec, exec, s[0:1]
	s_and_saveexec_b64 s[0:1], s[2:3]
; %bb.19:
	v_mov_b32_e32 v19, v21
	v_mov_b32_e32 v20, v22
; %bb.20:
	s_or_b64 exec, exec, s[0:1]
	v_cmp_ge_u32_sdwa s[0:1], v23, v22 src0_sel:DWORD src1_sel:WORD_1
	v_cmp_ne_u32_e32 vcc, 0, v21
	s_or_b64 s[0:1], s[0:1], vcc
	v_sub_u32_sdwa v23, v23, v22 dst_sel:DWORD dst_unused:UNUSED_PAD src0_sel:DWORD src1_sel:WORD_1
                                        ; implicit-def: $vgpr21_vgpr22
	s_and_saveexec_b64 s[2:3], s[0:1]
	s_xor_b64 s[0:1], exec, s[2:3]
; %bb.21:
	v_mov_b32_e32 v21, 0
	v_mov_b32_e32 v22, v19
; %bb.22:
	s_andn2_saveexec_b64 s[0:1], s[0:1]
; %bb.23:
	v_add_co_u32_e32 v23, vcc, 1, v23
	v_cndmask_b32_e64 v22, -2, -1, vcc
	v_mov_b32_e32 v21, 0
; %bb.24:
	s_or_b64 exec, exec, s[0:1]
	v_sub_co_u32_e32 v19, vcc, v17, v15
	v_subb_co_u32_e32 v20, vcc, v18, v16, vcc
	v_add_co_u32_e32 v24, vcc, 1, v19
	v_addc_co_u32_e32 v25, vcc, -1, v20, vcc
	v_cmp_lt_u64_e32 vcc, v[17:18], v[15:16]
	v_or_b32_e32 v21, v21, v23
	v_cndmask_b32_e32 v20, v20, v25, vcc
	v_cndmask_b32_e32 v19, v19, v24, vcc
	v_add_co_u32_e32 v23, vcc, -1, v21
	s_mov_b32 s1, -1
	s_mov_b32 s0, 1
	v_addc_co_u32_e32 v24, vcc, 0, v22, vcc
	v_cmp_lt_u64_e32 vcc, s[0:1], v[21:22]
	s_mov_b32 s0, 0
	v_cndmask_b32_e32 v21, v21, v23, vcc
	v_cndmask_b32_e32 v22, v22, v24, vcc
	v_add_co_u32_e32 v23, vcc, v21, v19
	v_addc_co_u32_e32 v24, vcc, v22, v20, vcc
	v_add_co_u32_e32 v25, vcc, -1, v23
	v_addc_co_u32_e32 v26, vcc, 0, v24, vcc
	v_cmp_lt_u64_e32 vcc, v[23:24], v[21:22]
	s_mov_b64 s[2:3], 0xffffffff
	v_cndmask_b32_e32 v23, v23, v25, vcc
	v_cndmask_b32_e32 v24, v24, v26, vcc
	v_add_co_u32_e32 v25, vcc, -1, v23
	v_addc_co_u32_e32 v26, vcc, 0, v24, vcc
	v_cmp_lt_u64_e32 vcc, s[0:1], v[23:24]
	s_mov_b64 s[8:9], -1
	v_cndmask_b32_e32 v24, v24, v26, vcc
	v_cndmask_b32_e32 v23, v23, v25, vcc
	v_lshrrev_b32_e32 v33, 8, v24
	v_alignbit_b32 v24, v24, v23, 8
	v_add_co_u32_e32 v28, vcc, v24, v33
	v_lshlrev_b32_e32 v34, 24, v23
	v_addc_co_u32_e64 v29, s[6:7], 0, 0, vcc
	v_sub_co_u32_e32 v23, vcc, v34, v33
	s_xor_b64 s[6:7], vcc, -1
	v_cmp_ne_u32_e32 vcc, 0, v28
	v_mov_b32_e32 v27, s1
	s_or_b64 s[10:11], s[6:7], vcc
	s_mov_b64 s[6:7], 0
	v_mov_b32_e32 v26, s0
                                        ; implicit-def: $vgpr25_vgpr26
	s_and_saveexec_b64 s[0:1], s[10:11]
	s_cbranch_execz .LBB0_30
; %bb.25:
	v_cmp_lt_u64_e32 vcc, s[2:3], v[28:29]
	v_mov_b32_e32 v24, v28
	s_mov_b64 s[8:9], 0
	v_mov_b32_e32 v27, -1
	s_mov_b64 s[10:11], 0
                                        ; implicit-def: $vgpr29
	s_and_saveexec_b64 s[2:3], vcc
	s_cbranch_execz .LBB0_29
; %bb.26:
	v_cmp_ne_u32_e32 vcc, v34, v33
	s_mov_b64 s[8:9], -1
	v_mov_b32_e32 v27, v24
                                        ; implicit-def: $vgpr29
	v_mov_b32_e32 v26, v23
	s_and_saveexec_b64 s[10:11], vcc
; %bb.27:
	s_mov_b64 s[6:7], exec
	v_add_u32_e32 v29, -1, v23
	v_add_u32_e32 v27, 1, v28
	s_xor_b64 s[8:9], exec, -1
; %bb.28:
	s_or_b64 exec, exec, s[10:11]
	s_and_b64 s[10:11], s[8:9], exec
	s_and_b64 s[8:9], s[6:7], exec
.LBB0_29:
	s_or_b64 exec, exec, s[2:3]
	v_mov_b32_e32 v26, v24
	s_and_b64 s[6:7], s[10:11], exec
	s_orn2_b64 s[8:9], s[8:9], exec
	v_mov_b32_e32 v25, v23
	v_mov_b32_e32 v23, v29
.LBB0_30:
	s_or_b64 exec, exec, s[0:1]
	v_mov_b32_e32 v28, -1
	v_mov_b32_e32 v29, 0
	s_and_saveexec_b64 s[0:1], s[8:9]
; %bb.31:
	v_mov_b32_e32 v24, 0
	v_mov_b32_e32 v29, v24
	s_or_b64 s[6:7], s[6:7], exec
	v_mov_b32_e32 v28, v23
; %bb.32:
	s_or_b64 exec, exec, s[0:1]
	s_and_saveexec_b64 s[0:1], s[6:7]
; %bb.33:
	v_or_b32_e32 v29, v27, v29
	v_mov_b32_e32 v25, v28
	v_mov_b32_e32 v26, v29
; %bb.34:
	s_or_b64 exec, exec, s[0:1]
	v_add_co_u32_e32 v17, vcc, v15, v17
	v_addc_co_u32_e32 v18, vcc, v16, v18, vcc
	v_add_co_u32_e32 v23, vcc, -1, v17
	v_addc_co_u32_e32 v24, vcc, 0, v18, vcc
	v_cmp_lt_u64_e32 vcc, v[17:18], v[15:16]
	s_mov_b32 s2, 0
	v_cndmask_b32_e32 v15, v17, v23, vcc
	v_cndmask_b32_e32 v16, v18, v24, vcc
	v_add_co_u32_e32 v17, vcc, -1, v15
	s_mov_b32 s3, -1
	v_addc_co_u32_e32 v18, vcc, 0, v16, vcc
	v_cmp_lt_u64_e32 vcc, s[2:3], v[15:16]
	s_mov_b64 s[0:1], 0xffffffff
	v_cndmask_b32_e32 v16, v16, v18, vcc
	v_cndmask_b32_e32 v15, v15, v17, vcc
	v_add_co_u32_e32 v13, vcc, v11, v13
	v_addc_co_u32_e32 v14, vcc, v12, v14, vcc
	v_add_co_u32_e32 v17, vcc, -1, v13
	v_addc_co_u32_e32 v18, vcc, 0, v14, vcc
	v_cmp_lt_u64_e32 vcc, v[13:14], v[11:12]
	s_mov_b64 s[6:7], -1
	v_cndmask_b32_e32 v11, v13, v17, vcc
	v_cndmask_b32_e32 v12, v14, v18, vcc
	v_add_co_u32_e32 v13, vcc, -1, v11
	v_addc_co_u32_e32 v14, vcc, 0, v12, vcc
	v_cmp_lt_u64_e32 vcc, s[2:3], v[11:12]
	v_cndmask_b32_e32 v11, v11, v13, vcc
	v_cndmask_b32_e32 v12, v12, v14, vcc
	v_sub_co_u32_e32 v13, vcc, v15, v11
	v_subb_co_u32_e32 v14, vcc, v16, v12, vcc
	v_add_co_u32_e32 v17, vcc, 1, v13
	v_addc_co_u32_e32 v18, vcc, -1, v14, vcc
	v_cmp_lt_u64_e32 vcc, v[15:16], v[11:12]
	v_cndmask_b32_e32 v18, v14, v18, vcc
	v_cndmask_b32_e32 v13, v13, v17, vcc
	v_alignbit_b32 v24, v18, v13, 16
	v_lshlrev_b32_e32 v13, 16, v13
	v_add_co_u32_e32 v13, vcc, v24, v13
	v_addc_co_u32_e64 v14, s[2:3], 0, 0, vcc
	v_sub_co_u32_e32 v23, vcc, 0, v24
	s_xor_b64 s[2:3], vcc, -1
	v_cmp_ne_u32_e32 vcc, 0, v13
	s_or_b64 s[8:9], s[2:3], vcc
	v_mov_b32_e32 v17, -1
	s_and_saveexec_b64 s[2:3], s[8:9]
	s_cbranch_execz .LBB0_40
; %bb.35:
	v_cmp_lt_u64_e32 vcc, s[0:1], v[13:14]
	s_mov_b64 s[6:7], 0
	v_mov_b32_e32 v17, v13
	s_and_saveexec_b64 s[0:1], vcc
	s_cbranch_execz .LBB0_39
; %bb.36:
	v_cmp_ne_u32_e32 vcc, 0, v24
	v_mov_b32_e32 v23, -1
	v_mov_b32_e32 v17, v13
	s_and_saveexec_b64 s[8:9], vcc
; %bb.37:
	s_mov_b64 s[6:7], exec
	v_not_b32_e32 v23, v24
	v_add_u32_e32 v17, 1, v13
; %bb.38:
	s_or_b64 exec, exec, s[8:9]
	s_and_b64 s[6:7], s[6:7], exec
.LBB0_39:
	s_or_b64 exec, exec, s[0:1]
	s_orn2_b64 s[6:7], s[6:7], exec
.LBB0_40:
	s_or_b64 exec, exec, s[2:3]
	s_and_saveexec_b64 s[0:1], s[6:7]
; %bb.41:
	v_mov_b32_e32 v13, v17
	v_mov_b32_e32 v14, v18
; %bb.42:
	s_or_b64 exec, exec, s[0:1]
	v_cmp_ge_u32_sdwa s[0:1], v23, v18 src0_sel:DWORD src1_sel:WORD_1
	v_cmp_ne_u32_e32 vcc, 0, v17
	s_or_b64 s[0:1], s[0:1], vcc
	v_sub_u32_sdwa v33, v23, v18 dst_sel:DWORD dst_unused:UNUSED_PAD src0_sel:DWORD src1_sel:WORD_1
                                        ; implicit-def: $vgpr23_vgpr24
	s_and_saveexec_b64 s[2:3], s[0:1]
	s_xor_b64 s[0:1], exec, s[2:3]
; %bb.43:
	v_mov_b32_e32 v23, 0
	v_mov_b32_e32 v24, v13
; %bb.44:
	s_andn2_saveexec_b64 s[0:1], s[0:1]
; %bb.45:
	v_add_co_u32_e32 v33, vcc, 1, v33
	v_cndmask_b32_e64 v24, -2, -1, vcc
	v_mov_b32_e32 v23, 0
; %bb.46:
	s_or_b64 exec, exec, s[0:1]
	v_sub_co_u32_e32 v13, vcc, v19, v21
	v_subb_co_u32_e32 v14, vcc, v20, v22, vcc
	v_add_co_u32_e32 v17, vcc, 1, v13
	v_addc_co_u32_e32 v18, vcc, -1, v14, vcc
	v_cmp_lt_u64_e32 vcc, v[19:20], v[21:22]
	s_mov_b32 s6, 1
	v_cndmask_b32_e32 v14, v14, v18, vcc
	v_cndmask_b32_e32 v13, v13, v17, vcc
	v_lshrrev_b32_e32 v18, 24, v14
	v_alignbit_b32 v14, v14, v13, 24
	v_lshlrev_b32_e32 v13, 8, v13
	v_sub_u32_e32 v17, 0, v13
	v_sub_co_u32_e32 v14, vcc, v17, v14
	v_cmp_eq_u32_e64 s[0:1], 0, v13
	v_cmp_eq_u32_e64 s[2:3], -1, v14
	v_cndmask_b32_e64 v17, -2, -1, s[2:3]
	s_and_b64 vcc, vcc, s[0:1]
	v_cndmask_b32_e32 v13, v13, v17, vcc
	v_addc_co_u32_e32 v17, vcc, 0, v14, vcc
	s_mov_b32 s7, -1
	s_mov_b32 s8, 0
	v_sub_co_u32_e32 v18, vcc, v13, v18
	s_and_saveexec_b64 s[0:1], vcc
; %bb.47:
	v_add_u32_e32 v13, -1, v18
	v_add_co_u32_e32 v17, vcc, 1, v17
	v_cndmask_b32_e32 v18, v13, v18, vcc
; %bb.48:
	s_or_b64 exec, exec, s[0:1]
	v_add_co_u32_e32 v13, vcc, v11, v15
	v_addc_co_u32_e32 v14, vcc, v12, v16, vcc
	v_add_co_u32_e32 v15, vcc, -1, v13
	v_addc_co_u32_e32 v16, vcc, 0, v14, vcc
	v_cmp_lt_u64_e32 vcc, v[13:14], v[11:12]
	s_mov_b32 s9, s7
	v_cndmask_b32_e32 v11, v13, v15, vcc
	v_cndmask_b32_e32 v12, v14, v16, vcc
	v_add_co_u32_e32 v13, vcc, -1, v11
	v_addc_co_u32_e32 v14, vcc, 0, v12, vcc
	v_cmp_lt_u64_e32 vcc, s[8:9], v[11:12]
	v_or_b32_e32 v9, v9, v31
	v_cndmask_b32_e32 v14, v12, v14, vcc
	v_cndmask_b32_e32 v13, v11, v13, vcc
	v_add_co_u32_e32 v11, vcc, -1, v9
	v_addc_co_u32_e32 v12, vcc, 0, v10, vcc
	v_cmp_lt_u64_e32 vcc, s[6:7], v[9:10]
	v_lshlrev_b32_e32 v29, 3, v30
	v_cndmask_b32_e32 v20, v10, v12, vcc
	v_cndmask_b32_e32 v19, v9, v11, vcc
	v_sub_co_u32_e32 v9, vcc, v3, v1
	v_subb_co_u32_e32 v10, vcc, v4, v2, vcc
	v_add_co_u32_e32 v11, vcc, 1, v9
	v_addc_co_u32_e32 v12, vcc, -1, v10, vcc
	v_cmp_lt_u64_e32 vcc, v[3:4], v[1:2]
	v_cndmask_b32_e32 v21, v9, v11, vcc
	v_cndmask_b32_e32 v22, v10, v12, vcc
	v_add_co_u32_e32 v9, vcc, v19, v21
	v_addc_co_u32_e32 v10, vcc, v20, v22, vcc
	v_add_co_u32_e32 v11, vcc, -1, v9
	v_addc_co_u32_e32 v12, vcc, 0, v10, vcc
	v_cmp_lt_u64_e32 vcc, v[9:10], v[19:20]
	v_cndmask_b32_e32 v9, v9, v11, vcc
	v_cndmask_b32_e32 v10, v10, v12, vcc
	v_add_co_u32_e32 v11, vcc, -1, v9
	v_addc_co_u32_e32 v12, vcc, 0, v10, vcc
	v_cmp_lt_u64_e32 vcc, s[8:9], v[9:10]
	v_cndmask_b32_e32 v10, v10, v12, vcc
	v_cndmask_b32_e32 v9, v9, v11, vcc
	v_add_co_u32_e32 v7, vcc, v5, v7
	v_addc_co_u32_e32 v8, vcc, v6, v8, vcc
	v_add_co_u32_e32 v11, vcc, -1, v7
	v_addc_co_u32_e32 v12, vcc, 0, v8, vcc
	v_cmp_lt_u64_e32 vcc, v[7:8], v[5:6]
	v_cndmask_b32_e32 v5, v7, v11, vcc
	v_cndmask_b32_e32 v6, v8, v12, vcc
	v_add_co_u32_e32 v7, vcc, -1, v5
	v_addc_co_u32_e32 v8, vcc, 0, v6, vcc
	;; [unrolled: 12-line block ×4, first 2 shown]
	v_cmp_lt_u64_e32 vcc, s[8:9], v[3:4]
	v_cndmask_b32_e32 v16, v4, v8, vcc
	v_cndmask_b32_e32 v15, v3, v7, vcc
	v_add_co_u32_e32 v3, vcc, -1, v25
	v_addc_co_u32_e32 v4, vcc, 0, v26, vcc
	v_cmp_lt_u64_e32 vcc, s[6:7], v[25:26]
	v_cndmask_b32_e32 v11, v25, v3, vcc
	v_cndmask_b32_e32 v12, v26, v4, vcc
	v_add_co_u32_e32 v3, vcc, v11, v9
	v_addc_co_u32_e32 v4, vcc, v12, v10, vcc
	v_add_co_u32_e32 v7, vcc, -1, v3
	v_addc_co_u32_e32 v8, vcc, 0, v4, vcc
	v_cmp_lt_u64_e32 vcc, v[3:4], v[11:12]
	v_cndmask_b32_e32 v3, v3, v7, vcc
	v_cndmask_b32_e32 v4, v4, v8, vcc
	v_add_co_u32_e32 v7, vcc, -1, v3
	v_addc_co_u32_e32 v8, vcc, 0, v4, vcc
	v_cmp_lt_u64_e32 vcc, s[8:9], v[3:4]
	v_cndmask_b32_e32 v3, v3, v7, vcc
	v_lshlrev_b32_e32 v7, 2, v0
	v_cndmask_b32_e32 v4, v4, v8, vcc
	v_and_b32_e32 v31, 4, v7
	v_add_co_u32_e32 v7, vcc, v13, v15
	v_addc_co_u32_e32 v8, vcc, v14, v16, vcc
	v_add_co_u32_e32 v25, vcc, -1, v7
	v_addc_co_u32_e32 v26, vcc, 0, v8, vcc
	v_cmp_lt_u64_e32 vcc, v[7:8], v[13:14]
	v_cndmask_b32_e32 v7, v7, v25, vcc
	v_cndmask_b32_e32 v8, v8, v26, vcc
	v_add_co_u32_e32 v25, vcc, -1, v7
	v_addc_co_u32_e32 v26, vcc, 0, v8, vcc
	v_cmp_lt_u64_e32 vcc, s[8:9], v[7:8]
	v_cndmask_b32_e32 v7, v7, v25, vcc
	v_cndmask_b32_e32 v8, v8, v26, vcc
	;; [unrolled: 5-line block ×3, first 2 shown]
	v_cmp_eq_u32_e32 vcc, 1, v32
	ds_write_b64 v29, v[7:8]
	s_and_saveexec_b64 s[2:3], vcc
	s_cbranch_execz .LBB0_60
; %bb.49:
	v_mul_u32_u24_e32 v32, 3, v31
	v_sub_u32_e32 v7, 64, v32
	v_lshrrev_b64 v[25:26], v7, v[3:4]
	v_sub_u32_e32 v7, 32, v32
	v_lshrrev_b64 v[7:8], v7, v[3:4]
	v_lshlrev_b32_e32 v32, v32, v3
	v_add_co_u32_e64 v27, s[0:1], v7, v25
	v_addc_co_u32_e64 v28, s[0:1], 0, v26, s[0:1]
	v_sub_co_u32_e64 v7, s[0:1], v32, v25
	s_xor_b64 s[6:7], s[0:1], -1
	v_cmp_ne_u32_e64 s[0:1], 0, v27
	s_mov_b64 s[8:9], -1
	s_or_b64 s[10:11], s[6:7], s[0:1]
	s_mov_b64 s[0:1], 0
	v_mov_b32_e32 v26, -1
                                        ; implicit-def: $vgpr3_vgpr4
	s_and_saveexec_b64 s[6:7], s[10:11]
	s_cbranch_execz .LBB0_55
; %bb.50:
	s_mov_b64 s[0:1], 0xffffffff
	v_cmp_lt_u64_e64 s[0:1], s[0:1], v[27:28]
	v_mov_b32_e32 v8, v27
	s_mov_b64 s[10:11], 0
	s_mov_b64 s[12:13], 0
                                        ; implicit-def: $vgpr28
	s_and_saveexec_b64 s[8:9], s[0:1]
	s_cbranch_execz .LBB0_54
; %bb.51:
	v_cmp_ne_u32_e64 s[0:1], v32, v25
	s_mov_b64 s[12:13], -1
	v_mov_b32_e32 v26, v8
                                        ; implicit-def: $vgpr28
	v_mov_b32_e32 v25, v7
	s_and_saveexec_b64 s[14:15], s[0:1]
; %bb.52:
	s_mov_b64 s[10:11], exec
	v_add_u32_e32 v28, -1, v7
	v_add_u32_e32 v26, 1, v27
	s_xor_b64 s[12:13], exec, -1
; %bb.53:
	s_or_b64 exec, exec, s[14:15]
	s_and_b64 s[12:13], s[12:13], exec
	s_and_b64 s[10:11], s[10:11], exec
.LBB0_54:
	s_or_b64 exec, exec, s[8:9]
	v_mov_b32_e32 v3, v7
	s_and_b64 s[0:1], s[12:13], exec
	s_orn2_b64 s[8:9], s[10:11], exec
	v_mov_b32_e32 v4, v8
	v_mov_b32_e32 v7, v28
.LBB0_55:
	s_or_b64 exec, exec, s[6:7]
	v_mov_b32_e32 v27, -1
	v_mov_b32_e32 v28, 0
	s_and_saveexec_b64 s[6:7], s[8:9]
; %bb.56:
	v_mov_b32_e32 v8, 0
	v_mov_b32_e32 v28, v8
	s_or_b64 s[0:1], s[0:1], exec
	v_mov_b32_e32 v27, v7
; %bb.57:
	s_or_b64 exec, exec, s[6:7]
	s_and_saveexec_b64 s[6:7], s[0:1]
; %bb.58:
	v_or_b32_e32 v28, v26, v28
	v_mov_b32_e32 v3, v27
	v_mov_b32_e32 v4, v28
; %bb.59:
	s_or_b64 exec, exec, s[6:7]
.LBB0_60:
	s_or_b64 exec, exec, s[2:3]
	v_sub_co_u32_e64 v7, s[0:1], v1, v5
	v_subb_co_u32_e64 v8, s[0:1], v2, v6, s[0:1]
	v_add_co_u32_e64 v25, s[0:1], 1, v7
	v_addc_co_u32_e64 v26, s[0:1], -1, v8, s[0:1]
	v_cmp_lt_u64_e64 s[0:1], v[1:2], v[5:6]
	v_or_b32_e32 v23, v23, v33
	s_mov_b32 s2, 1
	v_cndmask_b32_e64 v6, v8, v26, s[0:1]
	v_cndmask_b32_e64 v5, v7, v25, s[0:1]
	v_add_co_u32_e64 v1, s[0:1], -1, v23
	s_mov_b32 s3, -1
	v_addc_co_u32_e64 v2, s[0:1], 0, v24, s[0:1]
	v_cmp_lt_u64_e64 s[0:1], s[2:3], v[23:24]
	s_mov_b32 s6, 0
	v_cndmask_b32_e64 v7, v23, v1, s[0:1]
	v_cndmask_b32_e64 v8, v24, v2, s[0:1]
	v_add_co_u32_e64 v1, s[0:1], v7, v5
	v_addc_co_u32_e64 v2, s[0:1], v8, v6, s[0:1]
	v_add_co_u32_e64 v23, s[0:1], -1, v1
	v_addc_co_u32_e64 v24, s[0:1], 0, v2, s[0:1]
	v_cmp_lt_u64_e64 s[0:1], v[1:2], v[7:8]
	s_mov_b32 s7, s3
	v_cndmask_b32_e64 v1, v1, v23, s[0:1]
	v_cndmask_b32_e64 v2, v2, v24, s[0:1]
	v_add_co_u32_e64 v23, s[0:1], -1, v1
	v_addc_co_u32_e64 v24, s[0:1], 0, v2, s[0:1]
	v_cmp_lt_u64_e64 s[0:1], s[6:7], v[1:2]
	s_load_dwordx2 s[4:5], s[4:5], 0x0
	v_cndmask_b32_e64 v24, v2, v24, s[0:1]
	v_cndmask_b32_e64 v23, v1, v23, s[0:1]
	v_add_co_u32_e64 v1, s[0:1], -1, v3
	v_addc_co_u32_e64 v2, s[0:1], 0, v4, s[0:1]
	v_cmp_lt_u64_e64 s[0:1], s[2:3], v[3:4]
	v_cndmask_b32_e64 v2, v4, v2, s[0:1]
	v_cndmask_b32_e64 v1, v3, v1, s[0:1]
	ds_write_b64 v29, v[1:2] offset:8
	s_and_saveexec_b64 s[6:7], vcc
	s_cbranch_execz .LBB0_72
; %bb.61:
	v_mul_u32_u24_e32 v25, 6, v31
	v_sub_u32_e32 v1, 64, v25
	v_lshrrev_b64 v[3:4], v1, v[23:24]
	v_sub_u32_e32 v1, 32, v25
	v_lshrrev_b64 v[1:2], v1, v[23:24]
	v_lshlrev_b64 v[27:28], v25, v[23:24]
	v_add_co_u32_e64 v25, s[0:1], v1, v3
	v_addc_co_u32_e64 v26, s[0:1], 0, v4, s[0:1]
	v_sub_co_u32_e64 v1, s[0:1], v27, v3
	s_xor_b64 s[8:9], s[0:1], -1
	v_cmp_ne_u32_e64 s[0:1], 0, v25
	s_mov_b64 s[10:11], -1
	s_or_b64 s[12:13], s[8:9], s[0:1]
	s_mov_b64 s[0:1], 0
	v_mov_b32_e32 v4, -1
                                        ; implicit-def: $vgpr23_vgpr24
	s_and_saveexec_b64 s[8:9], s[12:13]
	s_cbranch_execz .LBB0_67
; %bb.62:
	s_mov_b64 s[0:1], 0xffffffff
	v_cmp_lt_u64_e64 s[0:1], s[0:1], v[25:26]
	v_mov_b32_e32 v2, v25
	s_mov_b64 s[12:13], 0
	s_mov_b64 s[14:15], 0
                                        ; implicit-def: $vgpr26
	s_and_saveexec_b64 s[10:11], s[0:1]
	s_cbranch_execz .LBB0_66
; %bb.63:
	v_cmp_ne_u32_e64 s[0:1], v27, v3
	s_mov_b64 s[14:15], -1
	v_mov_b32_e32 v4, v2
                                        ; implicit-def: $vgpr26
	v_mov_b32_e32 v3, v1
	s_and_saveexec_b64 s[16:17], s[0:1]
; %bb.64:
	s_mov_b64 s[12:13], exec
	v_add_u32_e32 v26, -1, v1
	v_add_u32_e32 v4, 1, v25
	s_xor_b64 s[14:15], exec, -1
; %bb.65:
	s_or_b64 exec, exec, s[16:17]
	s_and_b64 s[14:15], s[14:15], exec
	s_and_b64 s[12:13], s[12:13], exec
.LBB0_66:
	s_or_b64 exec, exec, s[10:11]
	v_mov_b32_e32 v24, v2
	s_and_b64 s[0:1], s[14:15], exec
	s_orn2_b64 s[10:11], s[12:13], exec
	v_mov_b32_e32 v23, v1
	v_mov_b32_e32 v1, v26
.LBB0_67:
	s_or_b64 exec, exec, s[8:9]
	v_mov_b32_e32 v2, -1
	v_mov_b32_e32 v3, 0
	s_and_saveexec_b64 s[8:9], s[10:11]
; %bb.68:
	v_mov_b32_e32 v2, 0
	v_mov_b32_e32 v3, v2
	s_or_b64 s[0:1], s[0:1], exec
	v_mov_b32_e32 v2, v1
; %bb.69:
	s_or_b64 exec, exec, s[8:9]
	s_and_saveexec_b64 s[8:9], s[0:1]
; %bb.70:
	v_or_b32_e32 v3, v4, v3
	v_mov_b32_e32 v24, v3
	v_mov_b32_e32 v23, v2
; %bb.71:
	s_or_b64 exec, exec, s[8:9]
.LBB0_72:
	s_or_b64 exec, exec, s[6:7]
	v_add_co_u32_e64 v1, s[0:1], -1, v23
	v_addc_co_u32_e64 v2, s[0:1], 0, v24, s[0:1]
	v_cmp_lt_u64_e64 s[0:1], s[2:3], v[23:24]
	s_mov_b32 s3, -1
	v_cndmask_b32_e64 v2, v24, v2, s[0:1]
	v_cndmask_b32_e64 v1, v23, v1, s[0:1]
	ds_write_b64 v29, v[1:2] offset:16
	v_sub_co_u32_e64 v1, s[0:1], v21, v19
	v_subb_co_u32_e64 v2, s[0:1], v22, v20, s[0:1]
	v_add_co_u32_e64 v3, s[0:1], 1, v1
	v_addc_co_u32_e64 v4, s[0:1], -1, v2, s[0:1]
	v_cmp_lt_u64_e64 s[0:1], v[21:22], v[19:20]
	s_mov_b32 s2, 1
	v_cndmask_b32_e64 v2, v2, v4, s[0:1]
	v_cndmask_b32_e64 v1, v1, v3, s[0:1]
	v_add_co_u32_e64 v3, s[0:1], -1, v17
	v_addc_co_u32_e64 v4, s[0:1], 0, v18, s[0:1]
	v_cmp_lt_u64_e64 s[0:1], s[2:3], v[17:18]
	s_mov_b32 s2, 0
	v_cndmask_b32_e64 v3, v17, v3, s[0:1]
	v_cndmask_b32_e64 v4, v18, v4, s[0:1]
	v_add_co_u32_e64 v17, s[0:1], v3, v1
	v_addc_co_u32_e64 v18, s[0:1], v4, v2, s[0:1]
	v_add_co_u32_e64 v19, s[0:1], -1, v17
	v_addc_co_u32_e64 v20, s[0:1], 0, v18, s[0:1]
	v_cmp_lt_u64_e64 s[0:1], v[17:18], v[3:4]
	v_mul_u32_u24_e32 v23, 9, v31
	v_cndmask_b32_e64 v17, v17, v19, s[0:1]
	v_cndmask_b32_e64 v18, v18, v20, s[0:1]
	v_add_co_u32_e64 v19, s[0:1], -1, v17
	v_addc_co_u32_e64 v20, s[0:1], 0, v18, s[0:1]
	v_cmp_lt_u64_e64 s[0:1], s[2:3], v[17:18]
	s_mov_b64 s[8:9], 0
	v_cndmask_b32_e64 v18, v18, v20, s[0:1]
	v_cndmask_b32_e64 v17, v17, v19, s[0:1]
	v_cmp_lt_i32_e64 s[0:1], 23, v23
                                        ; implicit-def: $vgpr19_vgpr20
	s_and_saveexec_b64 s[2:3], s[0:1]
	s_xor_b64 s[6:7], exec, s[2:3]
	s_cbranch_execnz .LBB0_75
; %bb.73:
	s_andn2_saveexec_b64 s[2:3], s[6:7]
	s_cbranch_execnz .LBB0_94
.LBB0_74:
	s_or_b64 exec, exec, s[2:3]
	s_and_saveexec_b64 s[2:3], s[8:9]
	s_cbranch_execnz .LBB0_95
	s_branch .LBB0_106
.LBB0_75:
	v_cmp_lt_i32_e64 s[0:1], 35, v23
                                        ; implicit-def: $vgpr19_vgpr20
	s_and_saveexec_b64 s[2:3], s[0:1]
	s_xor_b64 s[8:9], exec, s[2:3]
	s_cbranch_execz .LBB0_91
; %bb.76:
	v_mov_b32_e32 v20, v18
	v_cmp_eq_u32_e64 s[0:1], 36, v23
	v_mov_b32_e32 v19, v17
	s_and_saveexec_b64 s[10:11], s[0:1]
	s_cbranch_execz .LBB0_90
; %bb.77:
	v_alignbit_b32 v24, v18, v17, 28
	v_lshlrev_b32_e32 v19, 4, v17
	v_add_co_u32_e64 v21, s[0:1], v24, v19
	v_addc_co_u32_e64 v22, s[0:1], 0, 0, s[0:1]
	v_sub_co_u32_e64 v20, s[0:1], 0, v24
	s_xor_b64 s[2:3], s[0:1], -1
	v_cmp_ne_u32_e64 s[0:1], 0, v21
	s_mov_b64 s[12:13], -1
	s_or_b64 s[0:1], s[2:3], s[0:1]
	v_mov_b32_e32 v19, -1
	s_and_saveexec_b64 s[2:3], s[0:1]
	s_cbranch_execz .LBB0_83
; %bb.78:
	s_mov_b64 s[0:1], 0xffffffff
	v_cmp_lt_u64_e64 s[0:1], s[0:1], v[21:22]
	s_mov_b64 s[14:15], 0
	v_mov_b32_e32 v19, v21
	s_and_saveexec_b64 s[12:13], s[0:1]
	s_cbranch_execz .LBB0_82
; %bb.79:
	v_cmp_ne_u32_e64 s[0:1], 0, v24
	v_mov_b32_e32 v20, -1
	v_mov_b32_e32 v19, v21
	s_and_saveexec_b64 s[16:17], s[0:1]
; %bb.80:
	s_mov_b64 s[14:15], exec
	v_not_b32_e32 v20, v24
	v_add_u32_e32 v19, 1, v21
; %bb.81:
	s_or_b64 exec, exec, s[16:17]
	s_and_b64 s[14:15], s[14:15], exec
.LBB0_82:
	s_or_b64 exec, exec, s[12:13]
	s_orn2_b64 s[12:13], s[14:15], exec
.LBB0_83:
	s_or_b64 exec, exec, s[2:3]
	s_and_saveexec_b64 s[0:1], s[12:13]
; %bb.84:
	v_mov_b32_e32 v22, v20
	v_mov_b32_e32 v21, v19
; %bb.85:
	s_or_b64 exec, exec, s[0:1]
	v_lshrrev_b32_e32 v22, 28, v18
	v_cmp_ge_u32_e64 s[0:1], v20, v22
	v_cmp_ne_u32_e64 s[2:3], 0, v19
	s_or_b64 s[0:1], s[0:1], s[2:3]
	v_sub_u32_e32 v22, v20, v22
                                        ; implicit-def: $vgpr19_vgpr20
	s_and_saveexec_b64 s[2:3], s[0:1]
	s_xor_b64 s[0:1], exec, s[2:3]
; %bb.86:
	v_mov_b32_e32 v19, 0
	v_mov_b32_e32 v20, v21
; %bb.87:
	s_andn2_saveexec_b64 s[2:3], s[0:1]
; %bb.88:
	v_add_co_u32_e64 v22, s[0:1], 1, v22
	v_cndmask_b32_e64 v20, -2, -1, s[0:1]
	v_mov_b32_e32 v19, 0
; %bb.89:
	s_or_b64 exec, exec, s[2:3]
	v_or_b32_e32 v19, v19, v22
.LBB0_90:
	s_or_b64 exec, exec, s[10:11]
.LBB0_91:
	s_or_saveexec_b64 s[2:3], s[8:9]
	s_mov_b64 s[0:1], 0
	s_xor_b64 exec, exec, s[2:3]
; %bb.92:
	v_cmp_eq_u32_e64 s[0:1], 24, v23
	v_mov_b32_e32 v20, v18
	s_and_b64 s[0:1], s[0:1], exec
	v_mov_b32_e32 v19, v17
; %bb.93:
	s_or_b64 exec, exec, s[2:3]
	s_and_b64 s[8:9], s[0:1], exec
	s_andn2_saveexec_b64 s[2:3], s[6:7]
	s_cbranch_execz .LBB0_74
.LBB0_94:
	v_cmp_eq_u32_e64 s[0:1], 12, v23
	s_andn2_b64 s[6:7], s[8:9], exec
	s_and_b64 s[0:1], s[0:1], exec
	v_mov_b32_e32 v20, v18
	s_or_b64 s[8:9], s[6:7], s[0:1]
	v_mov_b32_e32 v19, v17
	s_or_b64 exec, exec, s[2:3]
	s_and_saveexec_b64 s[2:3], s[8:9]
	s_cbranch_execz .LBB0_106
.LBB0_95:
	v_sub_u32_e32 v19, 64, v23
	v_lshrrev_b64 v[24:25], v19, v[17:18]
	v_sub_u32_e32 v19, 32, v23
	v_lshrrev_b64 v[19:20], v19, v[17:18]
	v_lshlrev_b64 v[26:27], v23, v[17:18]
	v_add_co_u32_e64 v22, s[0:1], v19, v24
	v_addc_co_u32_e64 v23, s[0:1], 0, v25, s[0:1]
	v_sub_co_u32_e64 v17, s[0:1], v26, v24
	s_xor_b64 s[6:7], s[0:1], -1
	v_cmp_ne_u32_e64 s[0:1], 0, v22
	s_mov_b64 s[8:9], -1
	s_or_b64 s[10:11], s[6:7], s[0:1]
	s_mov_b64 s[0:1], 0
	v_mov_b32_e32 v21, -1
                                        ; implicit-def: $vgpr19_vgpr20
	s_and_saveexec_b64 s[6:7], s[10:11]
	s_cbranch_execz .LBB0_101
; %bb.96:
	s_mov_b64 s[0:1], 0xffffffff
	v_cmp_lt_u64_e64 s[0:1], s[0:1], v[22:23]
	v_mov_b32_e32 v18, v22
	s_mov_b64 s[10:11], 0
	s_mov_b64 s[12:13], 0
                                        ; implicit-def: $vgpr23
	s_and_saveexec_b64 s[8:9], s[0:1]
	s_cbranch_execz .LBB0_100
; %bb.97:
	v_cmp_ne_u32_e64 s[0:1], v26, v24
	s_mov_b64 s[12:13], -1
	v_mov_b32_e32 v21, v18
                                        ; implicit-def: $vgpr23
	v_mov_b32_e32 v20, v17
	s_and_saveexec_b64 s[14:15], s[0:1]
; %bb.98:
	s_mov_b64 s[10:11], exec
	v_add_u32_e32 v23, -1, v17
	v_add_u32_e32 v21, 1, v22
	s_xor_b64 s[12:13], exec, -1
; %bb.99:
	s_or_b64 exec, exec, s[14:15]
	s_and_b64 s[12:13], s[12:13], exec
	s_and_b64 s[10:11], s[10:11], exec
.LBB0_100:
	s_or_b64 exec, exec, s[8:9]
	v_mov_b32_e32 v20, v18
	s_and_b64 s[0:1], s[12:13], exec
	s_orn2_b64 s[8:9], s[10:11], exec
	v_mov_b32_e32 v19, v17
	v_mov_b32_e32 v17, v23
.LBB0_101:
	s_or_b64 exec, exec, s[6:7]
	v_mov_b32_e32 v22, -1
	v_mov_b32_e32 v23, 0
	s_and_saveexec_b64 s[6:7], s[8:9]
; %bb.102:
	v_mov_b32_e32 v18, 0
	v_mov_b32_e32 v23, v18
	s_or_b64 s[0:1], s[0:1], exec
	v_mov_b32_e32 v22, v17
; %bb.103:
	s_or_b64 exec, exec, s[6:7]
	s_and_saveexec_b64 s[6:7], s[0:1]
; %bb.104:
	v_or_b32_e32 v23, v21, v23
	v_mov_b32_e32 v19, v22
	v_mov_b32_e32 v20, v23
; %bb.105:
	s_or_b64 exec, exec, s[6:7]
.LBB0_106:
	s_or_b64 exec, exec, s[2:3]
	v_sub_co_u32_e64 v17, s[0:1], v15, v13
	v_subb_co_u32_e64 v18, s[0:1], v16, v14, s[0:1]
	v_add_co_u32_e64 v21, s[0:1], 1, v17
	v_addc_co_u32_e64 v22, s[0:1], -1, v18, s[0:1]
	v_cmp_lt_u64_e64 s[0:1], v[15:16], v[13:14]
	s_mov_b32 s2, 1
	v_cndmask_b32_e64 v14, v18, v22, s[0:1]
	v_cndmask_b32_e64 v13, v17, v21, s[0:1]
	v_add_co_u32_e64 v15, s[0:1], -1, v19
	s_mov_b32 s3, -1
	v_addc_co_u32_e64 v16, s[0:1], 0, v20, s[0:1]
	v_cmp_lt_u64_e64 s[0:1], s[2:3], v[19:20]
	v_cndmask_b32_e64 v16, v20, v16, s[0:1]
	v_cndmask_b32_e64 v15, v19, v15, s[0:1]
	ds_write_b64 v29, v[15:16] offset:24
	s_and_saveexec_b64 s[2:3], vcc
	s_cbranch_execz .LBB0_120
; %bb.107:
	v_mul_u32_u24_e32 v20, 12, v31
	v_sub_u32_e32 v15, 64, v20
	v_lshrrev_b64 v[18:19], v15, v[13:14]
	v_not_b32_e32 v15, 31
	v_mad_u32_u24 v15, v31, 12, v15
	v_lshlrev_b64 v[15:16], v15, v[13:14]
	s_mov_b64 s[6:7], -1
	v_add_co_u32_e32 v15, vcc, v18, v15
	v_addc_co_u32_e64 v16, s[0:1], 0, 0, vcc
	v_sub_co_u32_e32 v19, vcc, 0, v18
	s_xor_b64 s[0:1], vcc, -1
	v_cmp_ne_u32_e32 vcc, 0, v15
	s_or_b64 s[8:9], s[0:1], vcc
	v_mov_b32_e32 v17, -1
	s_and_saveexec_b64 s[0:1], s[8:9]
	s_cbranch_execz .LBB0_113
; %bb.108:
	s_mov_b64 s[6:7], 0xffffffff
	v_cmp_lt_u64_e32 vcc, s[6:7], v[15:16]
	s_mov_b64 s[8:9], 0
	v_mov_b32_e32 v17, v15
	s_and_saveexec_b64 s[6:7], vcc
	s_cbranch_execz .LBB0_112
; %bb.109:
	v_cmp_ne_u32_e32 vcc, 0, v18
	v_mov_b32_e32 v19, -1
	v_mov_b32_e32 v17, v15
	s_and_saveexec_b64 s[10:11], vcc
; %bb.110:
	s_mov_b64 s[8:9], exec
	v_not_b32_e32 v19, v18
	v_add_u32_e32 v17, 1, v15
; %bb.111:
	s_or_b64 exec, exec, s[10:11]
	s_and_b64 s[8:9], s[8:9], exec
.LBB0_112:
	s_or_b64 exec, exec, s[6:7]
	s_orn2_b64 s[6:7], s[8:9], exec
.LBB0_113:
	s_or_b64 exec, exec, s[0:1]
	s_and_saveexec_b64 s[0:1], s[6:7]
; %bb.114:
	v_mov_b32_e32 v15, v17
	v_mov_b32_e32 v16, v18
; %bb.115:
	s_or_b64 exec, exec, s[0:1]
	v_sub_u32_e32 v16, 0x60, v20
	v_lshrrev_b64 v[13:14], v16, v[13:14]
	v_cmp_ne_u32_e32 vcc, 0, v17
	v_cmp_ge_u32_e64 s[0:1], v19, v13
	s_or_b64 s[0:1], s[0:1], vcc
	v_sub_u32_e32 v16, v19, v13
                                        ; implicit-def: $vgpr13_vgpr14
	s_and_saveexec_b64 s[6:7], s[0:1]
	s_xor_b64 s[0:1], exec, s[6:7]
; %bb.116:
	v_mov_b32_e32 v13, 0
	v_mov_b32_e32 v14, v15
; %bb.117:
	s_andn2_saveexec_b64 s[0:1], s[0:1]
; %bb.118:
	v_add_co_u32_e32 v16, vcc, 1, v16
	v_cndmask_b32_e64 v14, -2, -1, vcc
	v_mov_b32_e32 v13, 0
; %bb.119:
	s_or_b64 exec, exec, s[0:1]
	v_or_b32_e32 v13, v13, v16
.LBB0_120:
	s_or_b64 exec, exec, s[2:3]
	s_mov_b32 s0, 1
	v_add_co_u32_e32 v15, vcc, -1, v13
	s_mov_b32 s1, -1
	v_addc_co_u32_e32 v16, vcc, 0, v14, vcc
	v_cmp_lt_u64_e32 vcc, s[0:1], v[13:14]
	v_cndmask_b32_e32 v14, v14, v16, vcc
	v_cndmask_b32_e32 v13, v13, v15, vcc
	ds_write_b64 v29, v[13:14] offset:32
	v_sub_co_u32_e32 v13, vcc, v9, v11
	v_subb_co_u32_e32 v14, vcc, v10, v12, vcc
	v_add_co_u32_e32 v15, vcc, 1, v13
	v_addc_co_u32_e32 v17, vcc, -1, v14, vcc
	v_cmp_lt_u64_e32 vcc, v[9:10], v[11:12]
	v_mul_u32_u24_e32 v16, 15, v31
	v_cndmask_b32_e32 v10, v14, v17, vcc
	v_cndmask_b32_e32 v9, v13, v15, vcc
	v_cmp_lt_i32_e32 vcc, 35, v16
	s_and_saveexec_b64 s[0:1], vcc
	s_xor_b64 s[2:3], exec, s[0:1]
	s_cbranch_execz .LBB0_144
; %bb.121:
	v_cmp_lt_i32_e32 vcc, 47, v16
	s_mov_b64 s[8:9], 0
	s_and_saveexec_b64 s[0:1], vcc
	s_xor_b64 s[0:1], exec, s[0:1]
	s_cbranch_execnz .LBB0_124
; %bb.122:
	s_andn2_saveexec_b64 s[0:1], s[0:1]
	s_cbranch_execnz .LBB0_129
.LBB0_123:
	s_or_b64 exec, exec, s[0:1]
	s_and_saveexec_b64 s[6:7], s[8:9]
	s_cbranch_execnz .LBB0_130
	s_branch .LBB0_143
.LBB0_124:
	v_cmp_lt_i32_e32 vcc, 59, v16
	s_mov_b64 s[6:7], 0
	s_and_saveexec_b64 s[8:9], vcc
	s_xor_b64 s[8:9], exec, s[8:9]
; %bb.125:
	v_cmp_eq_u32_e32 vcc, 60, v16
	s_and_b64 s[6:7], vcc, exec
; %bb.126:
	s_andn2_saveexec_b64 s[8:9], s[8:9]
; %bb.127:
	v_cmp_eq_u32_e32 vcc, 48, v16
	s_andn2_b64 s[6:7], s[6:7], exec
	s_and_b64 s[10:11], vcc, exec
	s_or_b64 s[6:7], s[6:7], s[10:11]
; %bb.128:
	s_or_b64 exec, exec, s[8:9]
	s_and_b64 s[8:9], s[6:7], exec
	s_andn2_saveexec_b64 s[0:1], s[0:1]
	s_cbranch_execz .LBB0_123
.LBB0_129:
	v_cmp_eq_u32_e32 vcc, 36, v16
	s_andn2_b64 s[6:7], s[8:9], exec
	s_and_b64 s[8:9], vcc, exec
	s_or_b64 s[8:9], s[6:7], s[8:9]
	s_or_b64 exec, exec, s[0:1]
	s_and_saveexec_b64 s[6:7], s[8:9]
	s_cbranch_execz .LBB0_143
.LBB0_130:
	v_sub_u32_e32 v11, 64, v16
	v_lshrrev_b64 v[14:15], v11, v[9:10]
	v_subrev_u32_e32 v11, 32, v16
	v_lshlrev_b64 v[11:12], v11, v[9:10]
	s_mov_b64 s[8:9], -1
	v_add_co_u32_e32 v11, vcc, v14, v11
	v_addc_co_u32_e64 v12, s[0:1], 0, 0, vcc
	v_sub_co_u32_e32 v15, vcc, 0, v14
	s_xor_b64 s[0:1], vcc, -1
	v_cmp_ne_u32_e32 vcc, 0, v11
	s_or_b64 s[10:11], s[0:1], vcc
	v_mov_b32_e32 v13, -1
	s_and_saveexec_b64 s[0:1], s[10:11]
	s_cbranch_execz .LBB0_136
; %bb.131:
	s_mov_b64 s[8:9], 0xffffffff
	v_cmp_lt_u64_e32 vcc, s[8:9], v[11:12]
	s_mov_b64 s[10:11], 0
	v_mov_b32_e32 v13, v11
	s_and_saveexec_b64 s[8:9], vcc
	s_cbranch_execz .LBB0_135
; %bb.132:
	v_cmp_ne_u32_e32 vcc, 0, v14
	v_mov_b32_e32 v15, -1
	v_mov_b32_e32 v13, v11
	s_and_saveexec_b64 s[12:13], vcc
; %bb.133:
	s_mov_b64 s[10:11], exec
	v_not_b32_e32 v15, v14
	v_add_u32_e32 v13, 1, v11
; %bb.134:
	s_or_b64 exec, exec, s[12:13]
	s_and_b64 s[10:11], s[10:11], exec
.LBB0_135:
	s_or_b64 exec, exec, s[8:9]
	s_orn2_b64 s[8:9], s[10:11], exec
.LBB0_136:
	s_or_b64 exec, exec, s[0:1]
	s_and_saveexec_b64 s[0:1], s[8:9]
; %bb.137:
	v_mov_b32_e32 v11, v13
	v_mov_b32_e32 v12, v14
; %bb.138:
	s_or_b64 exec, exec, s[0:1]
	v_sub_u32_e32 v12, 0x60, v16
	v_lshrrev_b64 v[9:10], v12, v[9:10]
	v_cmp_ne_u32_e32 vcc, 0, v13
	v_cmp_ge_u32_e64 s[0:1], v15, v9
	s_or_b64 s[0:1], s[0:1], vcc
	v_sub_u32_e32 v12, v15, v9
                                        ; implicit-def: $vgpr9_vgpr10
	s_and_saveexec_b64 s[8:9], s[0:1]
	s_xor_b64 s[0:1], exec, s[8:9]
; %bb.139:
	v_mov_b32_e32 v9, 0
	v_mov_b32_e32 v10, v11
; %bb.140:
	s_andn2_saveexec_b64 s[0:1], s[0:1]
; %bb.141:
	v_add_co_u32_e32 v12, vcc, 1, v12
	v_cndmask_b32_e64 v10, -2, -1, vcc
	v_mov_b32_e32 v9, 0
; %bb.142:
	s_or_b64 exec, exec, s[0:1]
	v_or_b32_e32 v9, v9, v12
.LBB0_143:
	s_or_b64 exec, exec, s[6:7]
                                        ; implicit-def: $vgpr16
.LBB0_144:
	s_andn2_saveexec_b64 s[0:1], s[2:3]
	s_cbranch_execz .LBB0_162
; %bb.145:
	v_cmp_lt_i32_e32 vcc, 23, v16
	s_mov_b64 s[6:7], 0
	s_and_saveexec_b64 s[2:3], vcc
	s_xor_b64 s[2:3], exec, s[2:3]
	s_cbranch_execnz .LBB0_148
; %bb.146:
	s_andn2_saveexec_b64 s[2:3], s[2:3]
	s_cbranch_execnz .LBB0_149
.LBB0_147:
	s_or_b64 exec, exec, s[2:3]
	s_and_saveexec_b64 s[2:3], s[6:7]
	s_cbranch_execnz .LBB0_150
	s_branch .LBB0_161
.LBB0_148:
	v_cmp_eq_u32_e32 vcc, 24, v16
	s_and_b64 s[6:7], vcc, exec
	s_andn2_saveexec_b64 s[2:3], s[2:3]
	s_cbranch_execz .LBB0_147
.LBB0_149:
	v_cmp_eq_u32_e32 vcc, 12, v16
	s_andn2_b64 s[6:7], s[6:7], exec
	s_and_b64 s[8:9], vcc, exec
	s_or_b64 s[6:7], s[6:7], s[8:9]
	s_or_b64 exec, exec, s[2:3]
	s_and_saveexec_b64 s[2:3], s[6:7]
	s_cbranch_execz .LBB0_161
.LBB0_150:
	v_sub_u32_e32 v11, 64, v16
	v_lshrrev_b64 v[13:14], v11, v[9:10]
	v_sub_u32_e32 v11, 32, v16
	v_lshrrev_b64 v[11:12], v11, v[9:10]
	v_lshlrev_b64 v[17:18], v16, v[9:10]
	v_add_co_u32_e32 v15, vcc, v11, v13
	v_addc_co_u32_e32 v16, vcc, 0, v14, vcc
	v_sub_co_u32_e32 v11, vcc, v17, v13
	s_xor_b64 s[6:7], vcc, -1
	v_cmp_ne_u32_e32 vcc, 0, v15
	s_mov_b64 s[10:11], -1
	s_or_b64 s[12:13], s[6:7], vcc
	s_mov_b64 s[8:9], 0
	v_mov_b32_e32 v14, -1
                                        ; implicit-def: $vgpr9_vgpr10
	s_and_saveexec_b64 s[6:7], s[12:13]
	s_cbranch_execz .LBB0_156
; %bb.151:
	s_mov_b64 s[8:9], 0xffffffff
	v_cmp_lt_u64_e32 vcc, s[8:9], v[15:16]
	v_mov_b32_e32 v12, v15
	s_mov_b64 s[10:11], 0
	s_mov_b64 s[12:13], 0
                                        ; implicit-def: $vgpr16
	s_and_saveexec_b64 s[8:9], vcc
	s_cbranch_execz .LBB0_155
; %bb.152:
	v_cmp_ne_u32_e32 vcc, v17, v13
	s_mov_b64 s[12:13], -1
	v_mov_b32_e32 v14, v12
                                        ; implicit-def: $vgpr16
	v_mov_b32_e32 v13, v11
	s_and_saveexec_b64 s[14:15], vcc
; %bb.153:
	s_mov_b64 s[10:11], exec
	v_add_u32_e32 v16, -1, v11
	v_add_u32_e32 v14, 1, v15
	s_xor_b64 s[12:13], exec, -1
; %bb.154:
	s_or_b64 exec, exec, s[14:15]
	s_and_b64 s[12:13], s[12:13], exec
	s_and_b64 s[10:11], s[10:11], exec
.LBB0_155:
	s_or_b64 exec, exec, s[8:9]
	v_mov_b32_e32 v9, v11
	s_and_b64 s[8:9], s[12:13], exec
	s_orn2_b64 s[10:11], s[10:11], exec
	v_mov_b32_e32 v10, v12
	v_mov_b32_e32 v11, v16
.LBB0_156:
	s_or_b64 exec, exec, s[6:7]
	v_mov_b32_e32 v12, -1
	v_mov_b32_e32 v13, 0
	s_and_saveexec_b64 s[6:7], s[10:11]
; %bb.157:
	v_mov_b32_e32 v12, 0
	v_mov_b32_e32 v13, v12
	s_or_b64 s[8:9], s[8:9], exec
	v_mov_b32_e32 v12, v11
; %bb.158:
	s_or_b64 exec, exec, s[6:7]
	s_and_saveexec_b64 s[6:7], s[8:9]
; %bb.159:
	v_or_b32_e32 v13, v14, v13
	v_mov_b32_e32 v9, v12
	v_mov_b32_e32 v10, v13
; %bb.160:
	s_or_b64 exec, exec, s[6:7]
.LBB0_161:
	s_or_b64 exec, exec, s[2:3]
.LBB0_162:
	s_or_b64 exec, exec, s[0:1]
	s_mov_b32 s0, 1
	v_add_co_u32_e32 v11, vcc, -1, v9
	s_mov_b32 s1, -1
	v_addc_co_u32_e32 v12, vcc, 0, v10, vcc
	v_cmp_lt_u64_e32 vcc, s[0:1], v[9:10]
	v_cndmask_b32_e32 v10, v10, v12, vcc
	v_cndmask_b32_e32 v9, v9, v11, vcc
	ds_write_b64 v29, v[9:10] offset:40
	v_sub_co_u32_e32 v10, vcc, v5, v7
	v_subb_co_u32_e32 v11, vcc, v6, v8, vcc
	v_add_co_u32_e32 v12, vcc, 1, v10
	v_addc_co_u32_e32 v13, vcc, -1, v11, vcc
	v_cmp_lt_u64_e32 vcc, v[5:6], v[7:8]
	v_mul_u32_u24_e32 v9, 18, v31
	v_cndmask_b32_e32 v6, v11, v13, vcc
	v_cndmask_b32_e32 v5, v10, v12, vcc
	v_cmp_lt_i32_e32 vcc, 47, v9
	s_and_saveexec_b64 s[0:1], vcc
	s_xor_b64 s[6:7], exec, s[0:1]
	s_cbranch_execz .LBB0_186
; %bb.163:
	s_movk_i32 s0, 0x47
	v_cmp_lt_i32_e32 vcc, s0, v9
	s_and_saveexec_b64 s[0:1], vcc
	s_xor_b64 s[8:9], exec, s[0:1]
	s_cbranch_execz .LBB0_169
; %bb.164:
	s_movk_i32 s0, 0x48
	v_cmp_eq_u32_e32 vcc, s0, v9
	s_and_saveexec_b64 s[10:11], vcc
	s_cbranch_execz .LBB0_168
; %bb.165:
	v_lshrrev_b32_e32 v7, 24, v6
	v_alignbit_b32 v6, v6, v5, 24
	v_lshlrev_b32_e32 v5, 8, v5
	v_sub_u32_e32 v8, 0, v5
	v_sub_co_u32_e32 v6, vcc, v8, v6
	v_cmp_eq_u32_e64 s[0:1], 0, v5
	v_cmp_eq_u32_e64 s[2:3], -1, v6
	v_cndmask_b32_e64 v8, -2, -1, s[2:3]
	s_and_b64 vcc, vcc, s[0:1]
	v_cndmask_b32_e32 v8, v5, v8, vcc
	v_addc_co_u32_e32 v5, vcc, 0, v6, vcc
	v_sub_co_u32_e32 v6, vcc, v8, v7
	s_and_saveexec_b64 s[0:1], vcc
; %bb.166:
	v_add_u32_e32 v7, -1, v6
	v_add_co_u32_e32 v5, vcc, 1, v5
	v_cndmask_b32_e32 v6, v7, v6, vcc
; %bb.167:
	s_or_b64 exec, exec, s[0:1]
.LBB0_168:
	s_or_b64 exec, exec, s[10:11]
                                        ; implicit-def: $vgpr9
.LBB0_169:
	s_andn2_saveexec_b64 s[0:1], s[8:9]
	s_cbranch_execz .LBB0_185
; %bb.170:
	v_cmp_eq_u32_e32 vcc, 48, v9
	s_and_saveexec_b64 s[2:3], vcc
	s_cbranch_execz .LBB0_184
; %bb.171:
	v_alignbit_b32 v10, v6, v5, 16
	v_lshlrev_b32_e32 v5, 16, v5
	v_add_co_u32_e32 v7, vcc, v10, v5
	v_addc_co_u32_e64 v8, s[8:9], 0, 0, vcc
	v_sub_co_u32_e32 v9, vcc, 0, v10
	s_xor_b64 s[8:9], vcc, -1
	v_cmp_ne_u32_e32 vcc, 0, v7
	s_mov_b64 s[10:11], -1
	s_or_b64 s[12:13], s[8:9], vcc
	v_mov_b32_e32 v5, -1
	s_and_saveexec_b64 s[8:9], s[12:13]
	s_cbranch_execz .LBB0_177
; %bb.172:
	s_mov_b64 s[10:11], 0xffffffff
	v_cmp_lt_u64_e32 vcc, s[10:11], v[7:8]
	s_mov_b64 s[12:13], 0
	v_mov_b32_e32 v5, v7
	s_and_saveexec_b64 s[10:11], vcc
	s_cbranch_execz .LBB0_176
; %bb.173:
	v_cmp_ne_u32_e32 vcc, 0, v10
	v_mov_b32_e32 v9, -1
	v_mov_b32_e32 v5, v7
	s_and_saveexec_b64 s[14:15], vcc
; %bb.174:
	s_mov_b64 s[12:13], exec
	v_not_b32_e32 v9, v10
	v_add_u32_e32 v5, 1, v7
; %bb.175:
	s_or_b64 exec, exec, s[14:15]
	s_and_b64 s[12:13], s[12:13], exec
.LBB0_176:
	s_or_b64 exec, exec, s[10:11]
	s_orn2_b64 s[10:11], s[12:13], exec
.LBB0_177:
	s_or_b64 exec, exec, s[8:9]
	s_and_saveexec_b64 s[8:9], s[10:11]
; %bb.178:
	v_mov_b32_e32 v8, v6
	v_mov_b32_e32 v7, v5
; %bb.179:
	s_or_b64 exec, exec, s[8:9]
	v_cmp_ge_u32_sdwa s[8:9], v9, v6 src0_sel:DWORD src1_sel:WORD_1
	v_cmp_ne_u32_e32 vcc, 0, v5
	s_or_b64 s[8:9], s[8:9], vcc
	v_sub_u32_sdwa v8, v9, v6 dst_sel:DWORD dst_unused:UNUSED_PAD src0_sel:DWORD src1_sel:WORD_1
                                        ; implicit-def: $vgpr5_vgpr6
	s_and_saveexec_b64 s[10:11], s[8:9]
	s_xor_b64 s[8:9], exec, s[10:11]
; %bb.180:
	v_mov_b32_e32 v5, 0
	v_mov_b32_e32 v6, v7
; %bb.181:
	s_andn2_saveexec_b64 s[8:9], s[8:9]
; %bb.182:
	v_add_co_u32_e32 v8, vcc, 1, v8
	v_cndmask_b32_e64 v6, -2, -1, vcc
	v_mov_b32_e32 v5, 0
; %bb.183:
	s_or_b64 exec, exec, s[8:9]
	v_or_b32_e32 v5, v5, v8
.LBB0_184:
	s_or_b64 exec, exec, s[2:3]
.LBB0_185:
	s_or_b64 exec, exec, s[0:1]
                                        ; implicit-def: $vgpr9
.LBB0_186:
	s_andn2_saveexec_b64 s[0:1], s[6:7]
	s_cbranch_execz .LBB0_200
; %bb.187:
	v_cmp_eq_u32_e32 vcc, 24, v9
	s_and_saveexec_b64 s[2:3], vcc
	s_cbranch_execz .LBB0_199
; %bb.188:
	v_lshrrev_b32_e32 v9, 8, v6
	v_alignbit_b32 v6, v6, v5, 8
	v_add_co_u32_e32 v11, vcc, v6, v9
	v_lshlrev_b32_e32 v13, 24, v5
	v_addc_co_u32_e64 v12, s[6:7], 0, 0, vcc
	v_sub_co_u32_e32 v7, vcc, v13, v9
	s_xor_b64 s[6:7], vcc, -1
	v_cmp_ne_u32_e32 vcc, 0, v11
	s_mov_b64 s[10:11], -1
	s_or_b64 s[12:13], s[6:7], vcc
	s_mov_b64 s[8:9], 0
	v_mov_b32_e32 v10, -1
                                        ; implicit-def: $vgpr5_vgpr6
	s_and_saveexec_b64 s[6:7], s[12:13]
	s_cbranch_execz .LBB0_194
; %bb.189:
	s_mov_b64 s[8:9], 0xffffffff
	v_cmp_lt_u64_e32 vcc, s[8:9], v[11:12]
	v_mov_b32_e32 v8, v11
	s_mov_b64 s[10:11], 0
	s_mov_b64 s[12:13], 0
                                        ; implicit-def: $vgpr12
	s_and_saveexec_b64 s[8:9], vcc
	s_cbranch_execz .LBB0_193
; %bb.190:
	v_cmp_ne_u32_e32 vcc, v13, v9
	s_mov_b64 s[12:13], -1
	v_mov_b32_e32 v10, v8
                                        ; implicit-def: $vgpr12
	v_mov_b32_e32 v9, v7
	s_and_saveexec_b64 s[14:15], vcc
; %bb.191:
	s_mov_b64 s[10:11], exec
	v_add_u32_e32 v12, -1, v7
	v_add_u32_e32 v10, 1, v11
	s_xor_b64 s[12:13], exec, -1
; %bb.192:
	s_or_b64 exec, exec, s[14:15]
	s_and_b64 s[12:13], s[12:13], exec
	s_and_b64 s[10:11], s[10:11], exec
.LBB0_193:
	s_or_b64 exec, exec, s[8:9]
	v_mov_b32_e32 v5, v7
	s_and_b64 s[8:9], s[12:13], exec
	s_orn2_b64 s[10:11], s[10:11], exec
	v_mov_b32_e32 v6, v8
	v_mov_b32_e32 v7, v12
.LBB0_194:
	s_or_b64 exec, exec, s[6:7]
	v_mov_b32_e32 v8, -1
	v_mov_b32_e32 v9, 0
	s_and_saveexec_b64 s[6:7], s[10:11]
; %bb.195:
	v_mov_b32_e32 v8, 0
	v_mov_b32_e32 v9, v8
	s_or_b64 s[8:9], s[8:9], exec
	v_mov_b32_e32 v8, v7
; %bb.196:
	s_or_b64 exec, exec, s[6:7]
	s_and_saveexec_b64 s[6:7], s[8:9]
; %bb.197:
	v_or_b32_e32 v9, v10, v9
	v_mov_b32_e32 v5, v8
	v_mov_b32_e32 v6, v9
; %bb.198:
	s_or_b64 exec, exec, s[6:7]
.LBB0_199:
	s_or_b64 exec, exec, s[2:3]
.LBB0_200:
	s_or_b64 exec, exec, s[0:1]
	s_mov_b32 s0, 1
	v_add_co_u32_e32 v7, vcc, -1, v5
	s_mov_b32 s1, -1
	v_addc_co_u32_e32 v8, vcc, 0, v6, vcc
	v_cmp_lt_u64_e32 vcc, s[0:1], v[5:6]
	s_mov_b64 s[6:7], 0
	v_cndmask_b32_e32 v6, v6, v8, vcc
	v_cndmask_b32_e32 v5, v5, v7, vcc
	ds_write_b64 v29, v[5:6] offset:48
	v_sub_co_u32_e32 v5, vcc, v1, v3
	v_subb_co_u32_e32 v6, vcc, v2, v4, vcc
	v_add_co_u32_e32 v8, vcc, 1, v5
	v_addc_co_u32_e32 v9, vcc, -1, v6, vcc
	v_cmp_lt_u64_e32 vcc, v[1:2], v[3:4]
	v_mul_u32_u24_e32 v7, 21, v31
	v_cndmask_b32_e32 v2, v6, v9, vcc
	v_cndmask_b32_e32 v1, v5, v8, vcc
	v_cmp_lt_i32_e32 vcc, 47, v7
	s_mov_b64 s[0:1], 0
                                        ; implicit-def: $vgpr3_vgpr4
	s_and_saveexec_b64 s[2:3], vcc
	s_xor_b64 s[8:9], exec, s[2:3]
	s_cbranch_execnz .LBB0_203
; %bb.201:
	s_or_saveexec_b64 s[8:9], s[8:9]
	s_mov_b64 s[2:3], 0
	s_xor_b64 exec, exec, s[8:9]
	s_cbranch_execnz .LBB0_220
.LBB0_202:
	s_or_b64 exec, exec, s[8:9]
	v_sub_u32_e32 v8, 64, v7
	s_and_saveexec_b64 s[8:9], s[0:1]
	s_cbranch_execnz .LBB0_225
	s_branch .LBB0_238
.LBB0_203:
	s_movk_i32 s0, 0x47
	v_cmp_lt_i32_e32 vcc, s0, v7
                                        ; implicit-def: $vgpr3_vgpr4
	s_and_saveexec_b64 s[0:1], vcc
	s_xor_b64 s[10:11], exec, s[0:1]
	s_cbranch_execz .LBB0_213
; %bb.204:
	s_movk_i32 s0, 0x53
	v_cmp_lt_i32_e32 vcc, s0, v7
	s_mov_b64 s[0:1], 0
	s_and_saveexec_b64 s[2:3], vcc
	s_xor_b64 s[2:3], exec, s[2:3]
; %bb.205:
	s_movk_i32 s0, 0x54
	v_cmp_eq_u32_e32 vcc, s0, v7
	s_and_b64 s[0:1], vcc, exec
; %bb.206:
	s_andn2_saveexec_b64 s[2:3], s[2:3]
; %bb.207:
	s_movk_i32 s12, 0x48
	v_cmp_eq_u32_e32 vcc, s12, v7
	s_andn2_b64 s[0:1], s[0:1], exec
	s_and_b64 s[12:13], vcc, exec
	s_or_b64 s[0:1], s[0:1], s[12:13]
; %bb.208:
	s_or_b64 exec, exec, s[2:3]
	v_mov_b32_e32 v4, v2
	v_mov_b32_e32 v3, v1
	s_and_saveexec_b64 s[12:13], s[0:1]
	s_cbranch_execz .LBB0_212
; %bb.209:
	v_sub_u32_e32 v3, 0x80, v7
	v_lshrrev_b64 v[4:5], v3, v[1:2]
	v_subrev_u32_e32 v5, 64, v7
	v_sub_u32_e32 v3, 0x60, v7
	v_lshlrev_b64 v[5:6], v5, v[1:2]
	v_lshrrev_b64 v[8:9], v3, v[1:2]
	v_sub_u32_e32 v3, 0, v5
	v_sub_co_u32_e32 v3, vcc, v3, v8
	v_cmp_eq_u32_e64 s[0:1], 0, v5
	v_cmp_eq_u32_e64 s[2:3], -1, v3
	v_cndmask_b32_e64 v6, -2, -1, s[2:3]
	s_and_b64 vcc, vcc, s[0:1]
	v_cndmask_b32_e32 v5, v5, v6, vcc
	v_addc_co_u32_e32 v3, vcc, 0, v3, vcc
	v_sub_co_u32_e32 v4, vcc, v5, v4
	s_and_saveexec_b64 s[0:1], vcc
; %bb.210:
	v_add_u32_e32 v5, -1, v4
	v_add_co_u32_e32 v3, vcc, 1, v3
	v_cndmask_b32_e32 v4, v5, v4, vcc
; %bb.211:
	s_or_b64 exec, exec, s[0:1]
.LBB0_212:
	s_or_b64 exec, exec, s[12:13]
.LBB0_213:
	s_or_saveexec_b64 s[0:1], s[10:11]
	s_mov_b64 s[2:3], 0
	s_xor_b64 exec, exec, s[0:1]
	s_cbranch_execz .LBB0_219
; %bb.214:
	v_cmp_lt_i32_e32 vcc, 59, v7
	s_and_saveexec_b64 s[10:11], vcc
	s_xor_b64 s[10:11], exec, s[10:11]
; %bb.215:
	v_cmp_eq_u32_e32 vcc, 60, v7
	s_and_b64 s[2:3], vcc, exec
; %bb.216:
	s_andn2_saveexec_b64 s[10:11], s[10:11]
; %bb.217:
	v_cmp_eq_u32_e32 vcc, 48, v7
	s_andn2_b64 s[2:3], s[2:3], exec
	s_and_b64 s[12:13], vcc, exec
	s_or_b64 s[2:3], s[2:3], s[12:13]
; %bb.218:
	s_or_b64 exec, exec, s[10:11]
	v_mov_b32_e32 v4, v2
	s_and_b64 s[2:3], s[2:3], exec
	v_mov_b32_e32 v3, v1
.LBB0_219:
	s_or_b64 exec, exec, s[0:1]
	s_and_b64 s[0:1], s[2:3], exec
	s_or_saveexec_b64 s[8:9], s[8:9]
	s_mov_b64 s[2:3], 0
	s_xor_b64 exec, exec, s[8:9]
	s_cbranch_execz .LBB0_202
.LBB0_220:
	v_cmp_lt_i32_e32 vcc, 23, v7
	s_mov_b64 s[10:11], -1
	s_mov_b64 s[12:13], s[0:1]
	s_and_saveexec_b64 s[2:3], vcc
	s_cbranch_execz .LBB0_224
; %bb.221:
	v_cmp_lt_i32_e32 vcc, 35, v7
	s_mov_b64 s[6:7], -1
	s_mov_b64 s[12:13], s[0:1]
	s_and_saveexec_b64 s[10:11], vcc
; %bb.222:
	v_cmp_eq_u32_e32 vcc, 36, v7
	s_andn2_b64 s[12:13], s[0:1], exec
	s_and_b64 s[14:15], vcc, exec
	s_xor_b64 s[6:7], exec, -1
	s_or_b64 s[12:13], s[12:13], s[14:15]
; %bb.223:
	s_or_b64 exec, exec, s[10:11]
	s_andn2_b64 s[14:15], s[0:1], exec
	s_and_b64 s[12:13], s[12:13], exec
	s_xor_b64 s[10:11], exec, -1
	s_and_b64 s[6:7], s[6:7], exec
	s_or_b64 s[12:13], s[14:15], s[12:13]
.LBB0_224:
	s_or_b64 exec, exec, s[2:3]
	s_and_b64 s[2:3], s[10:11], exec
	s_andn2_b64 s[0:1], s[0:1], exec
	s_and_b64 s[10:11], s[12:13], exec
	v_mov_b32_e32 v4, v2
	s_and_b64 s[6:7], s[6:7], exec
	s_or_b64 s[0:1], s[0:1], s[10:11]
	v_mov_b32_e32 v3, v1
	s_or_b64 exec, exec, s[8:9]
	v_sub_u32_e32 v8, 64, v7
	s_and_saveexec_b64 s[8:9], s[0:1]
	s_cbranch_execz .LBB0_238
.LBB0_225:
	v_lshrrev_b64 v[4:5], v8, v[1:2]
	v_subrev_u32_e32 v3, 32, v7
	v_lshlrev_b64 v[5:6], v3, v[1:2]
	s_mov_b64 s[10:11], -1
	v_add_co_u32_e32 v5, vcc, v4, v5
	v_addc_co_u32_e64 v6, s[0:1], 0, 0, vcc
	v_sub_co_u32_e32 v9, vcc, 0, v4
	s_xor_b64 s[0:1], vcc, -1
	v_cmp_ne_u32_e32 vcc, 0, v5
	s_or_b64 s[12:13], s[0:1], vcc
	v_mov_b32_e32 v3, -1
	s_and_saveexec_b64 s[0:1], s[12:13]
	s_cbranch_execz .LBB0_231
; %bb.226:
	s_mov_b64 s[10:11], 0xffffffff
	v_cmp_lt_u64_e32 vcc, s[10:11], v[5:6]
	s_mov_b64 s[12:13], 0
	v_mov_b32_e32 v3, v5
	s_and_saveexec_b64 s[10:11], vcc
	s_cbranch_execz .LBB0_230
; %bb.227:
	v_cmp_ne_u32_e32 vcc, 0, v4
	v_mov_b32_e32 v9, -1
	v_mov_b32_e32 v3, v5
	s_and_saveexec_b64 s[14:15], vcc
; %bb.228:
	s_mov_b64 s[12:13], exec
	v_not_b32_e32 v9, v4
	v_add_u32_e32 v3, 1, v5
; %bb.229:
	s_or_b64 exec, exec, s[14:15]
	s_and_b64 s[12:13], s[12:13], exec
.LBB0_230:
	s_or_b64 exec, exec, s[10:11]
	s_orn2_b64 s[10:11], s[12:13], exec
.LBB0_231:
	s_or_b64 exec, exec, s[0:1]
	s_and_saveexec_b64 s[0:1], s[10:11]
; %bb.232:
	v_mov_b32_e32 v6, v4
	v_mov_b32_e32 v5, v3
; %bb.233:
	s_or_b64 exec, exec, s[0:1]
	v_sub_u32_e32 v4, 0x60, v7
	v_lshrrev_b64 v[10:11], v4, v[1:2]
	v_cmp_ne_u32_e32 vcc, 0, v3
	v_cmp_ge_u32_e64 s[0:1], v9, v10
	s_or_b64 s[0:1], s[0:1], vcc
	v_sub_u32_e32 v6, v9, v10
                                        ; implicit-def: $vgpr3_vgpr4
	s_and_saveexec_b64 s[10:11], s[0:1]
	s_xor_b64 s[0:1], exec, s[10:11]
; %bb.234:
	v_mov_b32_e32 v3, 0
	v_mov_b32_e32 v4, v5
; %bb.235:
	s_andn2_saveexec_b64 s[0:1], s[0:1]
; %bb.236:
	v_add_co_u32_e32 v6, vcc, 1, v6
	v_cndmask_b32_e64 v4, -2, -1, vcc
	v_mov_b32_e32 v3, 0
; %bb.237:
	s_or_b64 exec, exec, s[0:1]
	v_or_b32_e32 v3, v3, v6
.LBB0_238:
	s_or_b64 exec, exec, s[8:9]
	s_mov_b64 s[8:9], 0
	s_and_saveexec_b64 s[0:1], s[6:7]
	s_xor_b64 s[0:1], exec, s[0:1]
	s_cbranch_execnz .LBB0_241
; %bb.239:
	s_or_b64 exec, exec, s[0:1]
	s_and_saveexec_b64 s[0:1], s[2:3]
	s_cbranch_execnz .LBB0_242
.LBB0_240:
	s_or_b64 exec, exec, s[0:1]
	s_and_saveexec_b64 s[0:1], s[8:9]
	s_cbranch_execnz .LBB0_243
	s_branch .LBB0_254
.LBB0_241:
	v_cmp_eq_u32_e32 vcc, 24, v7
	v_mov_b32_e32 v4, v2
	s_and_b64 s[8:9], vcc, exec
	v_mov_b32_e32 v3, v1
	s_or_b64 exec, exec, s[0:1]
	s_and_saveexec_b64 s[0:1], s[2:3]
	s_cbranch_execz .LBB0_240
.LBB0_242:
	v_cmp_eq_u32_e32 vcc, 12, v7
	s_andn2_b64 s[2:3], s[8:9], exec
	s_and_b64 s[6:7], vcc, exec
	v_mov_b32_e32 v4, v2
	s_or_b64 s[8:9], s[2:3], s[6:7]
	v_mov_b32_e32 v3, v1
	s_or_b64 exec, exec, s[0:1]
	s_and_saveexec_b64 s[0:1], s[8:9]
	s_cbranch_execz .LBB0_254
.LBB0_243:
	v_sub_u32_e32 v3, 32, v7
	v_lshrrev_b64 v[8:9], v8, v[1:2]
	v_lshrrev_b64 v[3:4], v3, v[1:2]
	v_lshlrev_b64 v[10:11], v7, v[1:2]
	v_add_co_u32_e32 v6, vcc, v3, v8
	v_addc_co_u32_e32 v7, vcc, 0, v9, vcc
	v_sub_co_u32_e32 v1, vcc, v10, v8
	s_xor_b64 s[2:3], vcc, -1
	v_cmp_ne_u32_e32 vcc, 0, v6
	s_mov_b64 s[8:9], -1
	s_or_b64 s[10:11], s[2:3], vcc
	s_mov_b64 s[6:7], 0
	v_mov_b32_e32 v5, -1
                                        ; implicit-def: $vgpr3_vgpr4
	s_and_saveexec_b64 s[2:3], s[10:11]
	s_cbranch_execz .LBB0_249
; %bb.244:
	s_mov_b64 s[6:7], 0xffffffff
	v_cmp_lt_u64_e32 vcc, s[6:7], v[6:7]
	v_mov_b32_e32 v2, v6
	s_mov_b64 s[8:9], 0
	s_mov_b64 s[10:11], 0
                                        ; implicit-def: $vgpr7
	s_and_saveexec_b64 s[6:7], vcc
	s_cbranch_execz .LBB0_248
; %bb.245:
	v_cmp_ne_u32_e32 vcc, v10, v8
	s_mov_b64 s[10:11], -1
	v_mov_b32_e32 v5, v2
                                        ; implicit-def: $vgpr7
	v_mov_b32_e32 v4, v1
	s_and_saveexec_b64 s[12:13], vcc
; %bb.246:
	s_mov_b64 s[8:9], exec
	v_add_u32_e32 v7, -1, v1
	v_add_u32_e32 v5, 1, v6
	s_xor_b64 s[10:11], exec, -1
; %bb.247:
	s_or_b64 exec, exec, s[12:13]
	s_and_b64 s[10:11], s[10:11], exec
	s_and_b64 s[8:9], s[8:9], exec
.LBB0_248:
	s_or_b64 exec, exec, s[6:7]
	v_mov_b32_e32 v4, v2
	s_and_b64 s[6:7], s[10:11], exec
	s_orn2_b64 s[8:9], s[8:9], exec
	v_mov_b32_e32 v3, v1
	v_mov_b32_e32 v1, v7
.LBB0_249:
	s_or_b64 exec, exec, s[2:3]
	v_mov_b32_e32 v6, -1
	v_mov_b32_e32 v7, 0
	s_and_saveexec_b64 s[2:3], s[8:9]
; %bb.250:
	v_mov_b32_e32 v2, 0
	v_mov_b32_e32 v7, v2
	s_or_b64 s[6:7], s[6:7], exec
	v_mov_b32_e32 v6, v1
; %bb.251:
	s_or_b64 exec, exec, s[2:3]
	s_and_saveexec_b64 s[2:3], s[6:7]
; %bb.252:
	v_or_b32_e32 v7, v5, v7
	v_mov_b32_e32 v3, v6
	v_mov_b32_e32 v4, v7
; %bb.253:
	s_or_b64 exec, exec, s[2:3]
.LBB0_254:
	s_or_b64 exec, exec, s[0:1]
	s_mov_b32 s0, 1
	v_add_co_u32_e32 v1, vcc, -1, v3
	s_mov_b32 s1, -1
	v_addc_co_u32_e32 v2, vcc, 0, v4, vcc
	v_cmp_lt_u64_e32 vcc, s[0:1], v[3:4]
	v_and_b32_e32 v23, 0x1c0, v30
	v_and_b32_e32 v24, 7, v0
	v_cndmask_b32_e32 v2, v4, v2, vcc
	v_cndmask_b32_e32 v1, v3, v1, vcc
	ds_write_b64 v29, v[1:2] offset:56
	v_or_b32_e32 v1, v24, v23
	v_lshlrev_b32_e32 v1, 3, v1
	s_waitcnt lgkmcnt(0)
	s_barrier
	ds_read2_b64 v[13:16], v1 offset1:8
	ds_read2_b64 v[9:12], v1 offset0:16 offset1:24
	ds_read2_b64 v[5:8], v1 offset0:32 offset1:40
	;; [unrolled: 1-line block ×3, first 2 shown]
	s_mov_b32 s2, 0
	s_waitcnt lgkmcnt(3)
	v_add_co_u32_e32 v17, vcc, v15, v13
	v_addc_co_u32_e32 v18, vcc, v16, v14, vcc
	v_add_co_u32_e32 v19, vcc, -1, v17
	v_addc_co_u32_e32 v20, vcc, 0, v18, vcc
	v_cmp_lt_u64_e32 vcc, v[17:18], v[15:16]
	s_mov_b32 s3, s1
	v_cndmask_b32_e32 v17, v17, v19, vcc
	v_cndmask_b32_e32 v18, v18, v20, vcc
	v_add_co_u32_e32 v19, vcc, -1, v17
	v_addc_co_u32_e32 v20, vcc, 0, v18, vcc
	v_cmp_lt_u64_e32 vcc, s[2:3], v[17:18]
	v_mov_b32_e32 v21, 0
	v_cndmask_b32_e32 v17, v17, v19, vcc
	v_cndmask_b32_e32 v18, v18, v20, vcc
	v_add_co_u32_e32 v19, vcc, -1, v17
	v_addc_co_u32_e32 v20, vcc, 0, v18, vcc
	v_cmp_lt_u64_e32 vcc, s[2:3], v[17:18]
	v_cndmask_b32_e32 v20, v18, v20, vcc
	v_cndmask_b32_e32 v19, v17, v19, vcc
	v_cmp_ne_u64_e32 vcc, 0, v[19:20]
	s_and_saveexec_b64 s[2:3], vcc
	s_cbranch_execz .LBB0_281
; %bb.255:
	s_mov_b32 s6, 0x10001
	s_mov_b32 s7, 0xfffeffff
	v_cmp_gt_u64_e32 vcc, s[6:7], v[19:20]
	v_mov_b32_e32 v21, 0xfffeffff
	v_mov_b32_e32 v22, 0x10001
	v_cndmask_b32_e32 v18, v21, v20, vcc
	v_cndmask_b32_e32 v17, v22, v19, vcc
	v_cmp_lt_u64_e32 vcc, s[6:7], v[19:20]
	s_movk_i32 s12, 0xffc0
	v_cndmask_b32_e32 v26, v22, v19, vcc
	v_cndmask_b32_e32 v25, v21, v20, vcc
	v_add_co_u32_e32 v27, vcc, -1, v26
	v_mov_b32_e32 v21, 0
	v_not_b32_e32 v20, v25
	v_not_b32_e32 v19, v26
	v_addc_co_u32_e32 v28, vcc, 0, v25, vcc
	v_mov_b32_e32 v22, 0
	s_mov_b64 s[6:7], 60
	s_branch .LBB0_258
.LBB0_256:                              ;   in Loop: Header=BB0_258 Depth=1
	s_or_b64 exec, exec, s[10:11]
.LBB0_257:                              ;   in Loop: Header=BB0_258 Depth=1
	s_or_b64 exec, exec, s[8:9]
	v_add_co_u32_e32 v29, vcc, -1, v21
	v_addc_co_u32_e32 v30, vcc, 0, v22, vcc
	s_add_i32 s12, s12, 4
	v_cmp_gt_u64_e32 vcc, s[0:1], v[21:22]
	s_add_u32 s6, s6, -4
	s_addc_u32 s7, s7, -1
	v_cndmask_b32_e32 v22, v30, v22, vcc
	s_cmp_lg_u32 s12, 0
	v_cndmask_b32_e32 v21, v29, v21, vcc
	s_cbranch_scc0 .LBB0_281
.LBB0_258:                              ; =>This Inner Loop Header: Depth=1
	v_lshlrev_b64 v[29:30], 1, v[21:22]
	s_add_i32 s8, s6, 3
	v_add_co_u32_e32 v32, vcc, -1, v29
	v_addc_co_u32_e32 v31, vcc, 0, v30, vcc
	v_cmp_gt_i64_e32 vcc, 0, v[21:22]
	v_cndmask_b32_e32 v22, v30, v31, vcc
	v_lshrrev_b64 v[30:31], s8, v[17:18]
	v_cndmask_b32_e32 v21, v29, v32, vcc
	v_and_b32_e32 v29, 1, v30
	v_cmp_eq_u32_e32 vcc, 1, v29
	s_and_saveexec_b64 s[8:9], vcc
	s_cbranch_execz .LBB0_264
; %bb.259:                              ;   in Loop: Header=BB0_258 Depth=1
	v_cmp_le_u64_e32 vcc, v[21:22], v[19:20]
	s_and_saveexec_b64 s[10:11], vcc
	s_xor_b64 s[10:11], exec, s[10:11]
; %bb.260:                              ;   in Loop: Header=BB0_258 Depth=1
	v_add_co_u32_e32 v21, vcc, v21, v26
	v_addc_co_u32_e32 v22, vcc, v22, v25, vcc
; %bb.261:                              ;   in Loop: Header=BB0_258 Depth=1
	s_andn2_saveexec_b64 s[10:11], s[10:11]
; %bb.262:                              ;   in Loop: Header=BB0_258 Depth=1
	v_add_co_u32_e32 v21, vcc, v27, v21
	v_addc_co_u32_e32 v22, vcc, v28, v22, vcc
; %bb.263:                              ;   in Loop: Header=BB0_258 Depth=1
	s_or_b64 exec, exec, s[10:11]
.LBB0_264:                              ;   in Loop: Header=BB0_258 Depth=1
	s_or_b64 exec, exec, s[8:9]
	v_add_co_u32_e32 v29, vcc, -1, v21
	v_addc_co_u32_e32 v30, vcc, 0, v22, vcc
	v_cmp_gt_u64_e32 vcc, s[0:1], v[21:22]
	s_add_i32 s8, s6, 2
	v_cndmask_b32_e32 v22, v30, v22, vcc
	v_cndmask_b32_e32 v21, v29, v21, vcc
	v_lshlrev_b64 v[29:30], 1, v[21:22]
	v_add_co_u32_e32 v32, vcc, -1, v29
	v_addc_co_u32_e32 v31, vcc, 0, v30, vcc
	v_cmp_gt_i64_e32 vcc, 0, v[21:22]
	v_cndmask_b32_e32 v22, v30, v31, vcc
	v_lshrrev_b64 v[30:31], s8, v[17:18]
	v_cndmask_b32_e32 v21, v29, v32, vcc
	v_and_b32_e32 v29, 1, v30
	v_cmp_eq_u32_e32 vcc, 1, v29
	s_and_saveexec_b64 s[8:9], vcc
	s_cbranch_execz .LBB0_270
; %bb.265:                              ;   in Loop: Header=BB0_258 Depth=1
	v_cmp_le_u64_e32 vcc, v[21:22], v[19:20]
	s_and_saveexec_b64 s[10:11], vcc
	s_xor_b64 s[10:11], exec, s[10:11]
; %bb.266:                              ;   in Loop: Header=BB0_258 Depth=1
	v_add_co_u32_e32 v21, vcc, v21, v26
	v_addc_co_u32_e32 v22, vcc, v22, v25, vcc
; %bb.267:                              ;   in Loop: Header=BB0_258 Depth=1
	s_andn2_saveexec_b64 s[10:11], s[10:11]
; %bb.268:                              ;   in Loop: Header=BB0_258 Depth=1
	v_add_co_u32_e32 v21, vcc, v27, v21
	v_addc_co_u32_e32 v22, vcc, v28, v22, vcc
; %bb.269:                              ;   in Loop: Header=BB0_258 Depth=1
	s_or_b64 exec, exec, s[10:11]
.LBB0_270:                              ;   in Loop: Header=BB0_258 Depth=1
	s_or_b64 exec, exec, s[8:9]
	v_add_co_u32_e32 v29, vcc, -1, v21
	v_addc_co_u32_e32 v30, vcc, 0, v22, vcc
	v_cmp_gt_u64_e32 vcc, s[0:1], v[21:22]
	s_add_i32 s8, s6, 1
	v_cndmask_b32_e32 v22, v30, v22, vcc
	v_cndmask_b32_e32 v21, v29, v21, vcc
	v_lshlrev_b64 v[29:30], 1, v[21:22]
	v_add_co_u32_e32 v32, vcc, -1, v29
	v_addc_co_u32_e32 v31, vcc, 0, v30, vcc
	v_cmp_gt_i64_e32 vcc, 0, v[21:22]
	v_cndmask_b32_e32 v22, v30, v31, vcc
	v_lshrrev_b64 v[30:31], s8, v[17:18]
	v_cndmask_b32_e32 v21, v29, v32, vcc
	v_and_b32_e32 v29, 1, v30
	v_cmp_eq_u32_e32 vcc, 1, v29
	s_and_saveexec_b64 s[8:9], vcc
	s_cbranch_execz .LBB0_276
; %bb.271:                              ;   in Loop: Header=BB0_258 Depth=1
	v_cmp_le_u64_e32 vcc, v[21:22], v[19:20]
	s_and_saveexec_b64 s[10:11], vcc
	s_xor_b64 s[10:11], exec, s[10:11]
; %bb.272:                              ;   in Loop: Header=BB0_258 Depth=1
	v_add_co_u32_e32 v21, vcc, v21, v26
	v_addc_co_u32_e32 v22, vcc, v22, v25, vcc
; %bb.273:                              ;   in Loop: Header=BB0_258 Depth=1
	s_andn2_saveexec_b64 s[10:11], s[10:11]
; %bb.274:                              ;   in Loop: Header=BB0_258 Depth=1
	v_add_co_u32_e32 v21, vcc, v27, v21
	v_addc_co_u32_e32 v22, vcc, v28, v22, vcc
; %bb.275:                              ;   in Loop: Header=BB0_258 Depth=1
	s_or_b64 exec, exec, s[10:11]
.LBB0_276:                              ;   in Loop: Header=BB0_258 Depth=1
	s_or_b64 exec, exec, s[8:9]
	v_add_co_u32_e32 v29, vcc, -1, v21
	v_addc_co_u32_e32 v30, vcc, 0, v22, vcc
	v_cmp_gt_u64_e32 vcc, s[0:1], v[21:22]
	v_cndmask_b32_e32 v22, v30, v22, vcc
	v_cndmask_b32_e32 v21, v29, v21, vcc
	v_lshlrev_b64 v[29:30], 1, v[21:22]
	v_add_co_u32_e32 v32, vcc, -1, v29
	v_addc_co_u32_e32 v31, vcc, 0, v30, vcc
	v_cmp_gt_i64_e32 vcc, 0, v[21:22]
	v_cndmask_b32_e32 v22, v30, v31, vcc
	v_lshrrev_b64 v[30:31], s6, v[17:18]
	v_cndmask_b32_e32 v21, v29, v32, vcc
	v_and_b32_e32 v29, 1, v30
	v_cmp_eq_u32_e32 vcc, 1, v29
	s_and_saveexec_b64 s[8:9], vcc
	s_cbranch_execz .LBB0_257
; %bb.277:                              ;   in Loop: Header=BB0_258 Depth=1
	v_cmp_le_u64_e32 vcc, v[21:22], v[19:20]
	s_and_saveexec_b64 s[10:11], vcc
	s_xor_b64 s[10:11], exec, s[10:11]
; %bb.278:                              ;   in Loop: Header=BB0_258 Depth=1
	v_add_co_u32_e32 v21, vcc, v21, v26
	v_addc_co_u32_e32 v22, vcc, v22, v25, vcc
; %bb.279:                              ;   in Loop: Header=BB0_258 Depth=1
	s_andn2_saveexec_b64 s[10:11], s[10:11]
	s_cbranch_execz .LBB0_256
; %bb.280:                              ;   in Loop: Header=BB0_258 Depth=1
	v_add_co_u32_e32 v21, vcc, v27, v21
	v_addc_co_u32_e32 v22, vcc, v28, v22, vcc
	s_branch .LBB0_256
.LBB0_281:
	s_or_b64 exec, exec, s[2:3]
	v_sub_co_u32_e32 v17, vcc, v13, v15
	v_subb_co_u32_e32 v18, vcc, v14, v16, vcc
	v_add_co_u32_e32 v19, vcc, 1, v17
	v_addc_co_u32_e32 v20, vcc, -1, v18, vcc
	v_cmp_lt_u64_e32 vcc, v[13:14], v[15:16]
	v_or_b32_e32 v15, s18, v23
	v_cndmask_b32_e32 v14, v18, v20, vcc
	v_lshlrev_b32_e32 v16, 12, v24
	v_lshrrev_b32_e32 v20, 4, v15
	v_cndmask_b32_e32 v13, v17, v19, vcc
	v_or_b32_e32 v19, v16, v20
	s_mov_b32 s0, 1
	v_lshlrev_b32_e32 v15, 2, v19
	s_mov_b32 s1, -1
	global_store_dword v15, v21, s[4:5]
	v_add_co_u32_e32 v15, vcc, -1, v13
	s_mov_b32 s2, 0
	s_mov_b32 s3, s1
	v_addc_co_u32_e32 v16, vcc, 0, v14, vcc
	v_cmp_lt_u64_e32 vcc, s[2:3], v[13:14]
	v_mov_b32_e32 v17, 0
	v_cndmask_b32_e32 v16, v14, v16, vcc
	v_cndmask_b32_e32 v15, v13, v15, vcc
	v_cmp_ne_u64_e32 vcc, 0, v[15:16]
	s_and_saveexec_b64 s[2:3], vcc
	s_cbranch_execz .LBB0_308
; %bb.282:
	s_mov_b32 s6, 0x10001
	s_mov_b32 s7, 0xfffeffff
	v_cmp_gt_u64_e32 vcc, s[6:7], v[15:16]
	v_mov_b32_e32 v17, 0xfffeffff
	v_mov_b32_e32 v18, 0x10001
	v_cndmask_b32_e32 v14, v17, v16, vcc
	v_cndmask_b32_e32 v13, v18, v15, vcc
	v_cmp_lt_u64_e32 vcc, s[6:7], v[15:16]
	s_movk_i32 s12, 0xffc0
	v_cndmask_b32_e32 v22, v18, v15, vcc
	v_cndmask_b32_e32 v21, v17, v16, vcc
	v_add_co_u32_e32 v23, vcc, -1, v22
	v_mov_b32_e32 v17, 0
	v_not_b32_e32 v16, v21
	v_not_b32_e32 v15, v22
	v_addc_co_u32_e32 v24, vcc, 0, v21, vcc
	v_mov_b32_e32 v18, 0
	s_mov_b64 s[6:7], 60
	s_branch .LBB0_285
.LBB0_283:                              ;   in Loop: Header=BB0_285 Depth=1
	s_or_b64 exec, exec, s[10:11]
.LBB0_284:                              ;   in Loop: Header=BB0_285 Depth=1
	s_or_b64 exec, exec, s[8:9]
	v_add_co_u32_e32 v25, vcc, -1, v17
	v_addc_co_u32_e32 v26, vcc, 0, v18, vcc
	s_add_i32 s12, s12, 4
	v_cmp_gt_u64_e32 vcc, s[0:1], v[17:18]
	s_add_u32 s6, s6, -4
	s_addc_u32 s7, s7, -1
	v_cndmask_b32_e32 v18, v26, v18, vcc
	s_cmp_lg_u32 s12, 0
	v_cndmask_b32_e32 v17, v25, v17, vcc
	s_cbranch_scc0 .LBB0_308
.LBB0_285:                              ; =>This Inner Loop Header: Depth=1
	v_lshlrev_b64 v[25:26], 1, v[17:18]
	s_add_i32 s8, s6, 3
	v_add_co_u32_e32 v28, vcc, -1, v25
	v_addc_co_u32_e32 v27, vcc, 0, v26, vcc
	v_cmp_gt_i64_e32 vcc, 0, v[17:18]
	v_cndmask_b32_e32 v18, v26, v27, vcc
	v_lshrrev_b64 v[26:27], s8, v[13:14]
	v_cndmask_b32_e32 v17, v25, v28, vcc
	v_and_b32_e32 v25, 1, v26
	v_cmp_eq_u32_e32 vcc, 1, v25
	s_and_saveexec_b64 s[8:9], vcc
	s_cbranch_execz .LBB0_291
; %bb.286:                              ;   in Loop: Header=BB0_285 Depth=1
	v_cmp_le_u64_e32 vcc, v[17:18], v[15:16]
	s_and_saveexec_b64 s[10:11], vcc
	s_xor_b64 s[10:11], exec, s[10:11]
; %bb.287:                              ;   in Loop: Header=BB0_285 Depth=1
	v_add_co_u32_e32 v17, vcc, v17, v22
	v_addc_co_u32_e32 v18, vcc, v18, v21, vcc
; %bb.288:                              ;   in Loop: Header=BB0_285 Depth=1
	s_andn2_saveexec_b64 s[10:11], s[10:11]
; %bb.289:                              ;   in Loop: Header=BB0_285 Depth=1
	v_add_co_u32_e32 v17, vcc, v23, v17
	v_addc_co_u32_e32 v18, vcc, v24, v18, vcc
; %bb.290:                              ;   in Loop: Header=BB0_285 Depth=1
	s_or_b64 exec, exec, s[10:11]
.LBB0_291:                              ;   in Loop: Header=BB0_285 Depth=1
	s_or_b64 exec, exec, s[8:9]
	v_add_co_u32_e32 v25, vcc, -1, v17
	v_addc_co_u32_e32 v26, vcc, 0, v18, vcc
	v_cmp_gt_u64_e32 vcc, s[0:1], v[17:18]
	s_add_i32 s8, s6, 2
	v_cndmask_b32_e32 v18, v26, v18, vcc
	v_cndmask_b32_e32 v17, v25, v17, vcc
	v_lshlrev_b64 v[25:26], 1, v[17:18]
	v_add_co_u32_e32 v28, vcc, -1, v25
	v_addc_co_u32_e32 v27, vcc, 0, v26, vcc
	v_cmp_gt_i64_e32 vcc, 0, v[17:18]
	v_cndmask_b32_e32 v18, v26, v27, vcc
	v_lshrrev_b64 v[26:27], s8, v[13:14]
	v_cndmask_b32_e32 v17, v25, v28, vcc
	v_and_b32_e32 v25, 1, v26
	v_cmp_eq_u32_e32 vcc, 1, v25
	s_and_saveexec_b64 s[8:9], vcc
	s_cbranch_execz .LBB0_297
; %bb.292:                              ;   in Loop: Header=BB0_285 Depth=1
	v_cmp_le_u64_e32 vcc, v[17:18], v[15:16]
	s_and_saveexec_b64 s[10:11], vcc
	s_xor_b64 s[10:11], exec, s[10:11]
; %bb.293:                              ;   in Loop: Header=BB0_285 Depth=1
	v_add_co_u32_e32 v17, vcc, v17, v22
	v_addc_co_u32_e32 v18, vcc, v18, v21, vcc
; %bb.294:                              ;   in Loop: Header=BB0_285 Depth=1
	s_andn2_saveexec_b64 s[10:11], s[10:11]
; %bb.295:                              ;   in Loop: Header=BB0_285 Depth=1
	v_add_co_u32_e32 v17, vcc, v23, v17
	v_addc_co_u32_e32 v18, vcc, v24, v18, vcc
; %bb.296:                              ;   in Loop: Header=BB0_285 Depth=1
	s_or_b64 exec, exec, s[10:11]
.LBB0_297:                              ;   in Loop: Header=BB0_285 Depth=1
	s_or_b64 exec, exec, s[8:9]
	v_add_co_u32_e32 v25, vcc, -1, v17
	v_addc_co_u32_e32 v26, vcc, 0, v18, vcc
	v_cmp_gt_u64_e32 vcc, s[0:1], v[17:18]
	s_add_i32 s8, s6, 1
	v_cndmask_b32_e32 v18, v26, v18, vcc
	v_cndmask_b32_e32 v17, v25, v17, vcc
	v_lshlrev_b64 v[25:26], 1, v[17:18]
	v_add_co_u32_e32 v28, vcc, -1, v25
	v_addc_co_u32_e32 v27, vcc, 0, v26, vcc
	v_cmp_gt_i64_e32 vcc, 0, v[17:18]
	v_cndmask_b32_e32 v18, v26, v27, vcc
	v_lshrrev_b64 v[26:27], s8, v[13:14]
	v_cndmask_b32_e32 v17, v25, v28, vcc
	v_and_b32_e32 v25, 1, v26
	v_cmp_eq_u32_e32 vcc, 1, v25
	s_and_saveexec_b64 s[8:9], vcc
	s_cbranch_execz .LBB0_303
; %bb.298:                              ;   in Loop: Header=BB0_285 Depth=1
	v_cmp_le_u64_e32 vcc, v[17:18], v[15:16]
	s_and_saveexec_b64 s[10:11], vcc
	s_xor_b64 s[10:11], exec, s[10:11]
; %bb.299:                              ;   in Loop: Header=BB0_285 Depth=1
	v_add_co_u32_e32 v17, vcc, v17, v22
	v_addc_co_u32_e32 v18, vcc, v18, v21, vcc
; %bb.300:                              ;   in Loop: Header=BB0_285 Depth=1
	s_andn2_saveexec_b64 s[10:11], s[10:11]
; %bb.301:                              ;   in Loop: Header=BB0_285 Depth=1
	v_add_co_u32_e32 v17, vcc, v23, v17
	v_addc_co_u32_e32 v18, vcc, v24, v18, vcc
; %bb.302:                              ;   in Loop: Header=BB0_285 Depth=1
	s_or_b64 exec, exec, s[10:11]
.LBB0_303:                              ;   in Loop: Header=BB0_285 Depth=1
	s_or_b64 exec, exec, s[8:9]
	v_add_co_u32_e32 v25, vcc, -1, v17
	v_addc_co_u32_e32 v26, vcc, 0, v18, vcc
	v_cmp_gt_u64_e32 vcc, s[0:1], v[17:18]
	v_cndmask_b32_e32 v18, v26, v18, vcc
	v_cndmask_b32_e32 v17, v25, v17, vcc
	v_lshlrev_b64 v[25:26], 1, v[17:18]
	v_add_co_u32_e32 v28, vcc, -1, v25
	v_addc_co_u32_e32 v27, vcc, 0, v26, vcc
	v_cmp_gt_i64_e32 vcc, 0, v[17:18]
	v_cndmask_b32_e32 v18, v26, v27, vcc
	v_lshrrev_b64 v[26:27], s6, v[13:14]
	v_cndmask_b32_e32 v17, v25, v28, vcc
	v_and_b32_e32 v25, 1, v26
	v_cmp_eq_u32_e32 vcc, 1, v25
	s_and_saveexec_b64 s[8:9], vcc
	s_cbranch_execz .LBB0_284
; %bb.304:                              ;   in Loop: Header=BB0_285 Depth=1
	v_cmp_le_u64_e32 vcc, v[17:18], v[15:16]
	s_and_saveexec_b64 s[10:11], vcc
	s_xor_b64 s[10:11], exec, s[10:11]
; %bb.305:                              ;   in Loop: Header=BB0_285 Depth=1
	v_add_co_u32_e32 v17, vcc, v17, v22
	v_addc_co_u32_e32 v18, vcc, v18, v21, vcc
; %bb.306:                              ;   in Loop: Header=BB0_285 Depth=1
	s_andn2_saveexec_b64 s[10:11], s[10:11]
	s_cbranch_execz .LBB0_283
; %bb.307:                              ;   in Loop: Header=BB0_285 Depth=1
	v_add_co_u32_e32 v17, vcc, v23, v17
	v_addc_co_u32_e32 v18, vcc, v24, v18, vcc
	s_branch .LBB0_283
.LBB0_308:
	s_or_b64 exec, exec, s[2:3]
	s_waitcnt lgkmcnt(2)
	v_add_co_u32_e32 v13, vcc, v11, v9
	v_addc_co_u32_e32 v14, vcc, v12, v10, vcc
	v_add_co_u32_e32 v15, vcc, -1, v13
	v_addc_co_u32_e32 v16, vcc, 0, v14, vcc
	v_cmp_lt_u64_e32 vcc, v[13:14], v[11:12]
	s_mov_b32 s1, -1
	v_cndmask_b32_e32 v13, v13, v15, vcc
	v_cndmask_b32_e32 v14, v14, v16, vcc
	v_add_co_u32_e32 v15, vcc, -1, v13
	s_mov_b32 s0, 0
	v_addc_co_u32_e32 v16, vcc, 0, v14, vcc
	v_cmp_lt_u64_e32 vcc, s[0:1], v[13:14]
	v_lshlrev_b32_e32 v0, 12, v0
	s_movk_i32 s2, 0x7000
	v_and_or_b32 v20, v0, s2, v20
	v_mov_b32_e32 v0, 0x20000
	v_cndmask_b32_e32 v13, v13, v15, vcc
	v_lshl_or_b32 v0, v20, 2, v0
	v_cndmask_b32_e32 v14, v14, v16, vcc
	global_store_dword v0, v17, s[4:5]
	v_add_co_u32_e32 v0, vcc, -1, v13
	v_addc_co_u32_e32 v15, vcc, 0, v14, vcc
	v_cmp_lt_u64_e32 vcc, s[0:1], v[13:14]
	v_mov_b32_e32 v17, 0
	v_cndmask_b32_e32 v16, v14, v15, vcc
	v_cndmask_b32_e32 v15, v13, v0, vcc
	v_cmp_ne_u64_e32 vcc, 0, v[15:16]
	s_and_saveexec_b64 s[2:3], vcc
	s_cbranch_execz .LBB0_335
; %bb.309:
	s_mov_b32 s6, 0x10001
	s_mov_b32 s7, 0xfffeffff
	v_cmp_gt_u64_e32 vcc, s[6:7], v[15:16]
	v_mov_b32_e32 v0, 0xfffeffff
	v_mov_b32_e32 v17, 0x10001
	v_cndmask_b32_e32 v14, v0, v16, vcc
	v_cndmask_b32_e32 v13, v17, v15, vcc
	v_cmp_lt_u64_e32 vcc, s[6:7], v[15:16]
	s_movk_i32 s12, 0xffc0
	v_cndmask_b32_e32 v21, v17, v15, vcc
	v_cndmask_b32_e32 v0, v0, v16, vcc
	v_add_co_u32_e32 v22, vcc, -1, v21
	v_mov_b32_e32 v17, 0
	v_not_b32_e32 v16, v0
	v_not_b32_e32 v15, v21
	v_addc_co_u32_e32 v23, vcc, 0, v0, vcc
	v_mov_b32_e32 v18, 0
	s_mov_b64 s[6:7], 60
	s_mov_b32 s0, 1
	s_branch .LBB0_312
.LBB0_310:                              ;   in Loop: Header=BB0_312 Depth=1
	s_or_b64 exec, exec, s[10:11]
.LBB0_311:                              ;   in Loop: Header=BB0_312 Depth=1
	s_or_b64 exec, exec, s[8:9]
	v_add_co_u32_e32 v24, vcc, -1, v17
	v_addc_co_u32_e32 v25, vcc, 0, v18, vcc
	s_add_i32 s12, s12, 4
	v_cmp_gt_u64_e32 vcc, s[0:1], v[17:18]
	s_add_u32 s6, s6, -4
	s_addc_u32 s7, s7, -1
	v_cndmask_b32_e32 v18, v25, v18, vcc
	s_cmp_lg_u32 s12, 0
	v_cndmask_b32_e32 v17, v24, v17, vcc
	s_cbranch_scc0 .LBB0_335
.LBB0_312:                              ; =>This Inner Loop Header: Depth=1
	v_lshlrev_b64 v[24:25], 1, v[17:18]
	s_add_i32 s8, s6, 3
	v_add_co_u32_e32 v27, vcc, -1, v24
	v_addc_co_u32_e32 v26, vcc, 0, v25, vcc
	v_cmp_gt_i64_e32 vcc, 0, v[17:18]
	v_cndmask_b32_e32 v18, v25, v26, vcc
	v_lshrrev_b64 v[25:26], s8, v[13:14]
	v_cndmask_b32_e32 v17, v24, v27, vcc
	v_and_b32_e32 v24, 1, v25
	v_cmp_eq_u32_e32 vcc, 1, v24
	s_and_saveexec_b64 s[8:9], vcc
	s_cbranch_execz .LBB0_318
; %bb.313:                              ;   in Loop: Header=BB0_312 Depth=1
	v_cmp_le_u64_e32 vcc, v[17:18], v[15:16]
	s_and_saveexec_b64 s[10:11], vcc
	s_xor_b64 s[10:11], exec, s[10:11]
; %bb.314:                              ;   in Loop: Header=BB0_312 Depth=1
	v_add_co_u32_e32 v17, vcc, v17, v21
	v_addc_co_u32_e32 v18, vcc, v18, v0, vcc
; %bb.315:                              ;   in Loop: Header=BB0_312 Depth=1
	s_andn2_saveexec_b64 s[10:11], s[10:11]
; %bb.316:                              ;   in Loop: Header=BB0_312 Depth=1
	v_add_co_u32_e32 v17, vcc, v22, v17
	v_addc_co_u32_e32 v18, vcc, v23, v18, vcc
; %bb.317:                              ;   in Loop: Header=BB0_312 Depth=1
	s_or_b64 exec, exec, s[10:11]
.LBB0_318:                              ;   in Loop: Header=BB0_312 Depth=1
	s_or_b64 exec, exec, s[8:9]
	v_add_co_u32_e32 v24, vcc, -1, v17
	v_addc_co_u32_e32 v25, vcc, 0, v18, vcc
	v_cmp_gt_u64_e32 vcc, s[0:1], v[17:18]
	s_add_i32 s8, s6, 2
	v_cndmask_b32_e32 v18, v25, v18, vcc
	v_cndmask_b32_e32 v17, v24, v17, vcc
	v_lshlrev_b64 v[24:25], 1, v[17:18]
	v_add_co_u32_e32 v27, vcc, -1, v24
	v_addc_co_u32_e32 v26, vcc, 0, v25, vcc
	v_cmp_gt_i64_e32 vcc, 0, v[17:18]
	v_cndmask_b32_e32 v18, v25, v26, vcc
	v_lshrrev_b64 v[25:26], s8, v[13:14]
	v_cndmask_b32_e32 v17, v24, v27, vcc
	v_and_b32_e32 v24, 1, v25
	v_cmp_eq_u32_e32 vcc, 1, v24
	s_and_saveexec_b64 s[8:9], vcc
	s_cbranch_execz .LBB0_324
; %bb.319:                              ;   in Loop: Header=BB0_312 Depth=1
	v_cmp_le_u64_e32 vcc, v[17:18], v[15:16]
	s_and_saveexec_b64 s[10:11], vcc
	s_xor_b64 s[10:11], exec, s[10:11]
; %bb.320:                              ;   in Loop: Header=BB0_312 Depth=1
	v_add_co_u32_e32 v17, vcc, v17, v21
	v_addc_co_u32_e32 v18, vcc, v18, v0, vcc
; %bb.321:                              ;   in Loop: Header=BB0_312 Depth=1
	s_andn2_saveexec_b64 s[10:11], s[10:11]
; %bb.322:                              ;   in Loop: Header=BB0_312 Depth=1
	v_add_co_u32_e32 v17, vcc, v22, v17
	v_addc_co_u32_e32 v18, vcc, v23, v18, vcc
; %bb.323:                              ;   in Loop: Header=BB0_312 Depth=1
	s_or_b64 exec, exec, s[10:11]
.LBB0_324:                              ;   in Loop: Header=BB0_312 Depth=1
	s_or_b64 exec, exec, s[8:9]
	v_add_co_u32_e32 v24, vcc, -1, v17
	v_addc_co_u32_e32 v25, vcc, 0, v18, vcc
	v_cmp_gt_u64_e32 vcc, s[0:1], v[17:18]
	s_add_i32 s8, s6, 1
	v_cndmask_b32_e32 v18, v25, v18, vcc
	v_cndmask_b32_e32 v17, v24, v17, vcc
	v_lshlrev_b64 v[24:25], 1, v[17:18]
	v_add_co_u32_e32 v27, vcc, -1, v24
	v_addc_co_u32_e32 v26, vcc, 0, v25, vcc
	v_cmp_gt_i64_e32 vcc, 0, v[17:18]
	v_cndmask_b32_e32 v18, v25, v26, vcc
	v_lshrrev_b64 v[25:26], s8, v[13:14]
	v_cndmask_b32_e32 v17, v24, v27, vcc
	v_and_b32_e32 v24, 1, v25
	v_cmp_eq_u32_e32 vcc, 1, v24
	s_and_saveexec_b64 s[8:9], vcc
	s_cbranch_execz .LBB0_330
; %bb.325:                              ;   in Loop: Header=BB0_312 Depth=1
	v_cmp_le_u64_e32 vcc, v[17:18], v[15:16]
	s_and_saveexec_b64 s[10:11], vcc
	s_xor_b64 s[10:11], exec, s[10:11]
; %bb.326:                              ;   in Loop: Header=BB0_312 Depth=1
	v_add_co_u32_e32 v17, vcc, v17, v21
	v_addc_co_u32_e32 v18, vcc, v18, v0, vcc
; %bb.327:                              ;   in Loop: Header=BB0_312 Depth=1
	s_andn2_saveexec_b64 s[10:11], s[10:11]
; %bb.328:                              ;   in Loop: Header=BB0_312 Depth=1
	v_add_co_u32_e32 v17, vcc, v22, v17
	v_addc_co_u32_e32 v18, vcc, v23, v18, vcc
; %bb.329:                              ;   in Loop: Header=BB0_312 Depth=1
	s_or_b64 exec, exec, s[10:11]
.LBB0_330:                              ;   in Loop: Header=BB0_312 Depth=1
	s_or_b64 exec, exec, s[8:9]
	v_add_co_u32_e32 v24, vcc, -1, v17
	v_addc_co_u32_e32 v25, vcc, 0, v18, vcc
	v_cmp_gt_u64_e32 vcc, s[0:1], v[17:18]
	v_cndmask_b32_e32 v18, v25, v18, vcc
	v_cndmask_b32_e32 v17, v24, v17, vcc
	v_lshlrev_b64 v[24:25], 1, v[17:18]
	v_add_co_u32_e32 v27, vcc, -1, v24
	v_addc_co_u32_e32 v26, vcc, 0, v25, vcc
	v_cmp_gt_i64_e32 vcc, 0, v[17:18]
	v_cndmask_b32_e32 v18, v25, v26, vcc
	v_lshrrev_b64 v[25:26], s6, v[13:14]
	v_cndmask_b32_e32 v17, v24, v27, vcc
	v_and_b32_e32 v24, 1, v25
	v_cmp_eq_u32_e32 vcc, 1, v24
	s_and_saveexec_b64 s[8:9], vcc
	s_cbranch_execz .LBB0_311
; %bb.331:                              ;   in Loop: Header=BB0_312 Depth=1
	v_cmp_le_u64_e32 vcc, v[17:18], v[15:16]
	s_and_saveexec_b64 s[10:11], vcc
	s_xor_b64 s[10:11], exec, s[10:11]
; %bb.332:                              ;   in Loop: Header=BB0_312 Depth=1
	v_add_co_u32_e32 v17, vcc, v17, v21
	v_addc_co_u32_e32 v18, vcc, v18, v0, vcc
; %bb.333:                              ;   in Loop: Header=BB0_312 Depth=1
	s_andn2_saveexec_b64 s[10:11], s[10:11]
	s_cbranch_execz .LBB0_310
; %bb.334:                              ;   in Loop: Header=BB0_312 Depth=1
	v_add_co_u32_e32 v17, vcc, v22, v17
	v_addc_co_u32_e32 v18, vcc, v23, v18, vcc
	s_branch .LBB0_310
.LBB0_335:
	s_or_b64 exec, exec, s[2:3]
	v_sub_co_u32_e32 v0, vcc, v9, v11
	v_subb_co_u32_e32 v13, vcc, v10, v12, vcc
	v_add_co_u32_e32 v14, vcc, 1, v0
	v_addc_co_u32_e32 v15, vcc, -1, v13, vcc
	v_cmp_lt_u64_e32 vcc, v[9:10], v[11:12]
	s_mov_b32 s0, 1
	v_cndmask_b32_e32 v9, v0, v14, vcc
	v_lshl_or_b32 v0, v19, 2, 4
	s_mov_b32 s1, -1
	v_cndmask_b32_e32 v10, v13, v15, vcc
	global_store_dword v0, v17, s[4:5]
	v_add_co_u32_e32 v0, vcc, -1, v9
	s_mov_b32 s2, 0
	s_mov_b32 s3, s1
	v_addc_co_u32_e32 v11, vcc, 0, v10, vcc
	v_cmp_lt_u64_e32 vcc, s[2:3], v[9:10]
	v_mov_b32_e32 v13, 0
	v_cndmask_b32_e32 v12, v10, v11, vcc
	v_cndmask_b32_e32 v11, v9, v0, vcc
	v_cmp_ne_u64_e32 vcc, 0, v[11:12]
	s_and_saveexec_b64 s[2:3], vcc
	s_cbranch_execz .LBB0_362
; %bb.336:
	s_mov_b32 s6, 0x10001
	s_mov_b32 s7, 0xfffeffff
	v_cmp_gt_u64_e32 vcc, s[6:7], v[11:12]
	v_mov_b32_e32 v0, 0xfffeffff
	v_mov_b32_e32 v13, 0x10001
	v_cndmask_b32_e32 v10, v0, v12, vcc
	v_cndmask_b32_e32 v9, v13, v11, vcc
	v_cmp_lt_u64_e32 vcc, s[6:7], v[11:12]
	s_movk_i32 s12, 0xffc0
	v_cndmask_b32_e32 v15, v13, v11, vcc
	v_cndmask_b32_e32 v0, v0, v12, vcc
	v_add_co_u32_e32 v16, vcc, -1, v15
	v_mov_b32_e32 v13, 0
	v_not_b32_e32 v12, v0
	v_not_b32_e32 v11, v15
	v_addc_co_u32_e32 v17, vcc, 0, v0, vcc
	v_mov_b32_e32 v14, 0
	s_mov_b64 s[6:7], 60
	s_branch .LBB0_339
.LBB0_337:                              ;   in Loop: Header=BB0_339 Depth=1
	s_or_b64 exec, exec, s[10:11]
.LBB0_338:                              ;   in Loop: Header=BB0_339 Depth=1
	s_or_b64 exec, exec, s[8:9]
	v_add_co_u32_e32 v18, vcc, -1, v13
	v_addc_co_u32_e32 v21, vcc, 0, v14, vcc
	s_add_i32 s12, s12, 4
	v_cmp_gt_u64_e32 vcc, s[0:1], v[13:14]
	s_add_u32 s6, s6, -4
	s_addc_u32 s7, s7, -1
	v_cndmask_b32_e32 v14, v21, v14, vcc
	s_cmp_lg_u32 s12, 0
	v_cndmask_b32_e32 v13, v18, v13, vcc
	s_cbranch_scc0 .LBB0_362
.LBB0_339:                              ; =>This Inner Loop Header: Depth=1
	v_lshlrev_b64 v[21:22], 1, v[13:14]
	s_add_i32 s8, s6, 3
	v_add_co_u32_e32 v18, vcc, -1, v21
	v_addc_co_u32_e32 v23, vcc, 0, v22, vcc
	v_cmp_gt_i64_e32 vcc, 0, v[13:14]
	v_cndmask_b32_e32 v14, v22, v23, vcc
	v_lshrrev_b64 v[22:23], s8, v[9:10]
	v_cndmask_b32_e32 v13, v21, v18, vcc
	v_and_b32_e32 v18, 1, v22
	v_cmp_eq_u32_e32 vcc, 1, v18
	s_and_saveexec_b64 s[8:9], vcc
	s_cbranch_execz .LBB0_345
; %bb.340:                              ;   in Loop: Header=BB0_339 Depth=1
	v_cmp_le_u64_e32 vcc, v[13:14], v[11:12]
	s_and_saveexec_b64 s[10:11], vcc
	s_xor_b64 s[10:11], exec, s[10:11]
; %bb.341:                              ;   in Loop: Header=BB0_339 Depth=1
	v_add_co_u32_e32 v13, vcc, v13, v15
	v_addc_co_u32_e32 v14, vcc, v14, v0, vcc
; %bb.342:                              ;   in Loop: Header=BB0_339 Depth=1
	s_andn2_saveexec_b64 s[10:11], s[10:11]
; %bb.343:                              ;   in Loop: Header=BB0_339 Depth=1
	v_add_co_u32_e32 v13, vcc, v16, v13
	v_addc_co_u32_e32 v14, vcc, v17, v14, vcc
; %bb.344:                              ;   in Loop: Header=BB0_339 Depth=1
	s_or_b64 exec, exec, s[10:11]
.LBB0_345:                              ;   in Loop: Header=BB0_339 Depth=1
	s_or_b64 exec, exec, s[8:9]
	v_add_co_u32_e32 v18, vcc, -1, v13
	v_addc_co_u32_e32 v21, vcc, 0, v14, vcc
	v_cmp_gt_u64_e32 vcc, s[0:1], v[13:14]
	s_add_i32 s8, s6, 2
	v_cndmask_b32_e32 v14, v21, v14, vcc
	v_cndmask_b32_e32 v13, v18, v13, vcc
	v_lshlrev_b64 v[21:22], 1, v[13:14]
	v_add_co_u32_e32 v18, vcc, -1, v21
	v_addc_co_u32_e32 v23, vcc, 0, v22, vcc
	v_cmp_gt_i64_e32 vcc, 0, v[13:14]
	v_cndmask_b32_e32 v14, v22, v23, vcc
	v_lshrrev_b64 v[22:23], s8, v[9:10]
	v_cndmask_b32_e32 v13, v21, v18, vcc
	v_and_b32_e32 v18, 1, v22
	v_cmp_eq_u32_e32 vcc, 1, v18
	s_and_saveexec_b64 s[8:9], vcc
	s_cbranch_execz .LBB0_351
; %bb.346:                              ;   in Loop: Header=BB0_339 Depth=1
	v_cmp_le_u64_e32 vcc, v[13:14], v[11:12]
	s_and_saveexec_b64 s[10:11], vcc
	s_xor_b64 s[10:11], exec, s[10:11]
; %bb.347:                              ;   in Loop: Header=BB0_339 Depth=1
	v_add_co_u32_e32 v13, vcc, v13, v15
	v_addc_co_u32_e32 v14, vcc, v14, v0, vcc
; %bb.348:                              ;   in Loop: Header=BB0_339 Depth=1
	s_andn2_saveexec_b64 s[10:11], s[10:11]
; %bb.349:                              ;   in Loop: Header=BB0_339 Depth=1
	v_add_co_u32_e32 v13, vcc, v16, v13
	v_addc_co_u32_e32 v14, vcc, v17, v14, vcc
; %bb.350:                              ;   in Loop: Header=BB0_339 Depth=1
	s_or_b64 exec, exec, s[10:11]
.LBB0_351:                              ;   in Loop: Header=BB0_339 Depth=1
	s_or_b64 exec, exec, s[8:9]
	v_add_co_u32_e32 v18, vcc, -1, v13
	v_addc_co_u32_e32 v21, vcc, 0, v14, vcc
	v_cmp_gt_u64_e32 vcc, s[0:1], v[13:14]
	s_add_i32 s8, s6, 1
	v_cndmask_b32_e32 v14, v21, v14, vcc
	v_cndmask_b32_e32 v13, v18, v13, vcc
	v_lshlrev_b64 v[21:22], 1, v[13:14]
	v_add_co_u32_e32 v18, vcc, -1, v21
	v_addc_co_u32_e32 v23, vcc, 0, v22, vcc
	v_cmp_gt_i64_e32 vcc, 0, v[13:14]
	v_cndmask_b32_e32 v14, v22, v23, vcc
	v_lshrrev_b64 v[22:23], s8, v[9:10]
	v_cndmask_b32_e32 v13, v21, v18, vcc
	v_and_b32_e32 v18, 1, v22
	v_cmp_eq_u32_e32 vcc, 1, v18
	s_and_saveexec_b64 s[8:9], vcc
	s_cbranch_execz .LBB0_357
; %bb.352:                              ;   in Loop: Header=BB0_339 Depth=1
	v_cmp_le_u64_e32 vcc, v[13:14], v[11:12]
	s_and_saveexec_b64 s[10:11], vcc
	s_xor_b64 s[10:11], exec, s[10:11]
; %bb.353:                              ;   in Loop: Header=BB0_339 Depth=1
	v_add_co_u32_e32 v13, vcc, v13, v15
	v_addc_co_u32_e32 v14, vcc, v14, v0, vcc
; %bb.354:                              ;   in Loop: Header=BB0_339 Depth=1
	s_andn2_saveexec_b64 s[10:11], s[10:11]
; %bb.355:                              ;   in Loop: Header=BB0_339 Depth=1
	v_add_co_u32_e32 v13, vcc, v16, v13
	v_addc_co_u32_e32 v14, vcc, v17, v14, vcc
; %bb.356:                              ;   in Loop: Header=BB0_339 Depth=1
	s_or_b64 exec, exec, s[10:11]
.LBB0_357:                              ;   in Loop: Header=BB0_339 Depth=1
	s_or_b64 exec, exec, s[8:9]
	v_add_co_u32_e32 v18, vcc, -1, v13
	v_addc_co_u32_e32 v21, vcc, 0, v14, vcc
	v_cmp_gt_u64_e32 vcc, s[0:1], v[13:14]
	v_cndmask_b32_e32 v14, v21, v14, vcc
	v_cndmask_b32_e32 v13, v18, v13, vcc
	v_lshlrev_b64 v[21:22], 1, v[13:14]
	v_add_co_u32_e32 v18, vcc, -1, v21
	v_addc_co_u32_e32 v23, vcc, 0, v22, vcc
	v_cmp_gt_i64_e32 vcc, 0, v[13:14]
	v_cndmask_b32_e32 v14, v22, v23, vcc
	v_lshrrev_b64 v[22:23], s6, v[9:10]
	v_cndmask_b32_e32 v13, v21, v18, vcc
	v_and_b32_e32 v18, 1, v22
	v_cmp_eq_u32_e32 vcc, 1, v18
	s_and_saveexec_b64 s[8:9], vcc
	s_cbranch_execz .LBB0_338
; %bb.358:                              ;   in Loop: Header=BB0_339 Depth=1
	v_cmp_le_u64_e32 vcc, v[13:14], v[11:12]
	s_and_saveexec_b64 s[10:11], vcc
	s_xor_b64 s[10:11], exec, s[10:11]
; %bb.359:                              ;   in Loop: Header=BB0_339 Depth=1
	v_add_co_u32_e32 v13, vcc, v13, v15
	v_addc_co_u32_e32 v14, vcc, v14, v0, vcc
; %bb.360:                              ;   in Loop: Header=BB0_339 Depth=1
	s_andn2_saveexec_b64 s[10:11], s[10:11]
	s_cbranch_execz .LBB0_337
; %bb.361:                              ;   in Loop: Header=BB0_339 Depth=1
	v_add_co_u32_e32 v13, vcc, v16, v13
	v_addc_co_u32_e32 v14, vcc, v17, v14, vcc
	s_branch .LBB0_337
.LBB0_362:
	s_or_b64 exec, exec, s[2:3]
	s_waitcnt lgkmcnt(1)
	v_add_co_u32_e32 v9, vcc, v7, v5
	v_addc_co_u32_e32 v10, vcc, v8, v6, vcc
	v_add_co_u32_e32 v0, vcc, -1, v9
	v_addc_co_u32_e32 v11, vcc, 0, v10, vcc
	v_cmp_lt_u64_e32 vcc, v[9:10], v[7:8]
	s_mov_b32 s1, -1
	v_cndmask_b32_e32 v9, v9, v0, vcc
	v_cndmask_b32_e32 v10, v10, v11, vcc
	v_add_co_u32_e32 v0, vcc, -1, v9
	s_mov_b32 s0, 0
	v_addc_co_u32_e32 v11, vcc, 0, v10, vcc
	v_cmp_lt_u64_e32 vcc, s[0:1], v[9:10]
	v_cndmask_b32_e32 v9, v9, v0, vcc
	v_mov_b32_e32 v0, 0x20004
	v_lshl_or_b32 v0, v20, 2, v0
	v_cndmask_b32_e32 v10, v10, v11, vcc
	global_store_dword v0, v13, s[4:5]
	v_add_co_u32_e32 v0, vcc, -1, v9
	v_addc_co_u32_e32 v11, vcc, 0, v10, vcc
	v_cmp_lt_u64_e32 vcc, s[0:1], v[9:10]
	v_mov_b32_e32 v13, 0
	v_cndmask_b32_e32 v12, v10, v11, vcc
	v_cndmask_b32_e32 v11, v9, v0, vcc
	v_cmp_ne_u64_e32 vcc, 0, v[11:12]
	s_and_saveexec_b64 s[2:3], vcc
	s_cbranch_execz .LBB0_389
; %bb.363:
	s_mov_b32 s6, 0x10001
	s_mov_b32 s7, 0xfffeffff
	v_cmp_gt_u64_e32 vcc, s[6:7], v[11:12]
	v_mov_b32_e32 v0, 0xfffeffff
	v_mov_b32_e32 v13, 0x10001
	v_cndmask_b32_e32 v10, v0, v12, vcc
	v_cndmask_b32_e32 v9, v13, v11, vcc
	v_cmp_lt_u64_e32 vcc, s[6:7], v[11:12]
	s_movk_i32 s12, 0xffc0
	v_cndmask_b32_e32 v15, v13, v11, vcc
	v_cndmask_b32_e32 v0, v0, v12, vcc
	v_add_co_u32_e32 v16, vcc, -1, v15
	v_mov_b32_e32 v13, 0
	v_not_b32_e32 v12, v0
	v_not_b32_e32 v11, v15
	v_addc_co_u32_e32 v17, vcc, 0, v0, vcc
	v_mov_b32_e32 v14, 0
	s_mov_b64 s[6:7], 60
	s_mov_b32 s0, 1
	s_branch .LBB0_366
.LBB0_364:                              ;   in Loop: Header=BB0_366 Depth=1
	s_or_b64 exec, exec, s[10:11]
.LBB0_365:                              ;   in Loop: Header=BB0_366 Depth=1
	s_or_b64 exec, exec, s[8:9]
	v_add_co_u32_e32 v18, vcc, -1, v13
	v_addc_co_u32_e32 v21, vcc, 0, v14, vcc
	s_add_i32 s12, s12, 4
	v_cmp_gt_u64_e32 vcc, s[0:1], v[13:14]
	s_add_u32 s6, s6, -4
	s_addc_u32 s7, s7, -1
	v_cndmask_b32_e32 v14, v21, v14, vcc
	s_cmp_lg_u32 s12, 0
	v_cndmask_b32_e32 v13, v18, v13, vcc
	s_cbranch_scc0 .LBB0_389
.LBB0_366:                              ; =>This Inner Loop Header: Depth=1
	v_lshlrev_b64 v[21:22], 1, v[13:14]
	s_add_i32 s8, s6, 3
	v_add_co_u32_e32 v18, vcc, -1, v21
	v_addc_co_u32_e32 v23, vcc, 0, v22, vcc
	v_cmp_gt_i64_e32 vcc, 0, v[13:14]
	v_cndmask_b32_e32 v14, v22, v23, vcc
	v_lshrrev_b64 v[22:23], s8, v[9:10]
	v_cndmask_b32_e32 v13, v21, v18, vcc
	v_and_b32_e32 v18, 1, v22
	v_cmp_eq_u32_e32 vcc, 1, v18
	s_and_saveexec_b64 s[8:9], vcc
	s_cbranch_execz .LBB0_372
; %bb.367:                              ;   in Loop: Header=BB0_366 Depth=1
	v_cmp_le_u64_e32 vcc, v[13:14], v[11:12]
	s_and_saveexec_b64 s[10:11], vcc
	s_xor_b64 s[10:11], exec, s[10:11]
; %bb.368:                              ;   in Loop: Header=BB0_366 Depth=1
	v_add_co_u32_e32 v13, vcc, v13, v15
	v_addc_co_u32_e32 v14, vcc, v14, v0, vcc
; %bb.369:                              ;   in Loop: Header=BB0_366 Depth=1
	s_andn2_saveexec_b64 s[10:11], s[10:11]
; %bb.370:                              ;   in Loop: Header=BB0_366 Depth=1
	v_add_co_u32_e32 v13, vcc, v16, v13
	v_addc_co_u32_e32 v14, vcc, v17, v14, vcc
; %bb.371:                              ;   in Loop: Header=BB0_366 Depth=1
	s_or_b64 exec, exec, s[10:11]
.LBB0_372:                              ;   in Loop: Header=BB0_366 Depth=1
	s_or_b64 exec, exec, s[8:9]
	v_add_co_u32_e32 v18, vcc, -1, v13
	v_addc_co_u32_e32 v21, vcc, 0, v14, vcc
	v_cmp_gt_u64_e32 vcc, s[0:1], v[13:14]
	s_add_i32 s8, s6, 2
	v_cndmask_b32_e32 v14, v21, v14, vcc
	v_cndmask_b32_e32 v13, v18, v13, vcc
	v_lshlrev_b64 v[21:22], 1, v[13:14]
	v_add_co_u32_e32 v18, vcc, -1, v21
	v_addc_co_u32_e32 v23, vcc, 0, v22, vcc
	v_cmp_gt_i64_e32 vcc, 0, v[13:14]
	v_cndmask_b32_e32 v14, v22, v23, vcc
	v_lshrrev_b64 v[22:23], s8, v[9:10]
	v_cndmask_b32_e32 v13, v21, v18, vcc
	v_and_b32_e32 v18, 1, v22
	v_cmp_eq_u32_e32 vcc, 1, v18
	s_and_saveexec_b64 s[8:9], vcc
	s_cbranch_execz .LBB0_378
; %bb.373:                              ;   in Loop: Header=BB0_366 Depth=1
	v_cmp_le_u64_e32 vcc, v[13:14], v[11:12]
	s_and_saveexec_b64 s[10:11], vcc
	s_xor_b64 s[10:11], exec, s[10:11]
; %bb.374:                              ;   in Loop: Header=BB0_366 Depth=1
	v_add_co_u32_e32 v13, vcc, v13, v15
	v_addc_co_u32_e32 v14, vcc, v14, v0, vcc
; %bb.375:                              ;   in Loop: Header=BB0_366 Depth=1
	s_andn2_saveexec_b64 s[10:11], s[10:11]
; %bb.376:                              ;   in Loop: Header=BB0_366 Depth=1
	v_add_co_u32_e32 v13, vcc, v16, v13
	v_addc_co_u32_e32 v14, vcc, v17, v14, vcc
; %bb.377:                              ;   in Loop: Header=BB0_366 Depth=1
	s_or_b64 exec, exec, s[10:11]
.LBB0_378:                              ;   in Loop: Header=BB0_366 Depth=1
	s_or_b64 exec, exec, s[8:9]
	v_add_co_u32_e32 v18, vcc, -1, v13
	v_addc_co_u32_e32 v21, vcc, 0, v14, vcc
	v_cmp_gt_u64_e32 vcc, s[0:1], v[13:14]
	s_add_i32 s8, s6, 1
	v_cndmask_b32_e32 v14, v21, v14, vcc
	v_cndmask_b32_e32 v13, v18, v13, vcc
	v_lshlrev_b64 v[21:22], 1, v[13:14]
	v_add_co_u32_e32 v18, vcc, -1, v21
	v_addc_co_u32_e32 v23, vcc, 0, v22, vcc
	v_cmp_gt_i64_e32 vcc, 0, v[13:14]
	v_cndmask_b32_e32 v14, v22, v23, vcc
	v_lshrrev_b64 v[22:23], s8, v[9:10]
	v_cndmask_b32_e32 v13, v21, v18, vcc
	v_and_b32_e32 v18, 1, v22
	v_cmp_eq_u32_e32 vcc, 1, v18
	s_and_saveexec_b64 s[8:9], vcc
	s_cbranch_execz .LBB0_384
; %bb.379:                              ;   in Loop: Header=BB0_366 Depth=1
	v_cmp_le_u64_e32 vcc, v[13:14], v[11:12]
	s_and_saveexec_b64 s[10:11], vcc
	s_xor_b64 s[10:11], exec, s[10:11]
; %bb.380:                              ;   in Loop: Header=BB0_366 Depth=1
	v_add_co_u32_e32 v13, vcc, v13, v15
	v_addc_co_u32_e32 v14, vcc, v14, v0, vcc
; %bb.381:                              ;   in Loop: Header=BB0_366 Depth=1
	s_andn2_saveexec_b64 s[10:11], s[10:11]
; %bb.382:                              ;   in Loop: Header=BB0_366 Depth=1
	v_add_co_u32_e32 v13, vcc, v16, v13
	v_addc_co_u32_e32 v14, vcc, v17, v14, vcc
; %bb.383:                              ;   in Loop: Header=BB0_366 Depth=1
	s_or_b64 exec, exec, s[10:11]
.LBB0_384:                              ;   in Loop: Header=BB0_366 Depth=1
	s_or_b64 exec, exec, s[8:9]
	v_add_co_u32_e32 v18, vcc, -1, v13
	v_addc_co_u32_e32 v21, vcc, 0, v14, vcc
	v_cmp_gt_u64_e32 vcc, s[0:1], v[13:14]
	v_cndmask_b32_e32 v14, v21, v14, vcc
	v_cndmask_b32_e32 v13, v18, v13, vcc
	v_lshlrev_b64 v[21:22], 1, v[13:14]
	v_add_co_u32_e32 v18, vcc, -1, v21
	v_addc_co_u32_e32 v23, vcc, 0, v22, vcc
	v_cmp_gt_i64_e32 vcc, 0, v[13:14]
	v_cndmask_b32_e32 v14, v22, v23, vcc
	v_lshrrev_b64 v[22:23], s6, v[9:10]
	v_cndmask_b32_e32 v13, v21, v18, vcc
	v_and_b32_e32 v18, 1, v22
	v_cmp_eq_u32_e32 vcc, 1, v18
	s_and_saveexec_b64 s[8:9], vcc
	s_cbranch_execz .LBB0_365
; %bb.385:                              ;   in Loop: Header=BB0_366 Depth=1
	v_cmp_le_u64_e32 vcc, v[13:14], v[11:12]
	s_and_saveexec_b64 s[10:11], vcc
	s_xor_b64 s[10:11], exec, s[10:11]
; %bb.386:                              ;   in Loop: Header=BB0_366 Depth=1
	v_add_co_u32_e32 v13, vcc, v13, v15
	v_addc_co_u32_e32 v14, vcc, v14, v0, vcc
; %bb.387:                              ;   in Loop: Header=BB0_366 Depth=1
	s_andn2_saveexec_b64 s[10:11], s[10:11]
	s_cbranch_execz .LBB0_364
; %bb.388:                              ;   in Loop: Header=BB0_366 Depth=1
	v_add_co_u32_e32 v13, vcc, v16, v13
	v_addc_co_u32_e32 v14, vcc, v17, v14, vcc
	s_branch .LBB0_364
.LBB0_389:
	s_or_b64 exec, exec, s[2:3]
	v_sub_co_u32_e32 v0, vcc, v5, v7
	v_subb_co_u32_e32 v9, vcc, v6, v8, vcc
	v_add_co_u32_e32 v10, vcc, 1, v0
	v_addc_co_u32_e32 v11, vcc, -1, v9, vcc
	v_cmp_lt_u64_e32 vcc, v[5:6], v[7:8]
	s_mov_b32 s0, 1
	v_cndmask_b32_e32 v5, v0, v10, vcc
	v_lshl_or_b32 v0, v19, 2, 8
	s_mov_b32 s1, -1
	v_cndmask_b32_e32 v6, v9, v11, vcc
	global_store_dword v0, v13, s[4:5]
	v_add_co_u32_e32 v0, vcc, -1, v5
	s_mov_b32 s2, 0
	s_mov_b32 s3, s1
	v_addc_co_u32_e32 v7, vcc, 0, v6, vcc
	v_cmp_lt_u64_e32 vcc, s[2:3], v[5:6]
	v_mov_b32_e32 v9, 0
	v_cndmask_b32_e32 v8, v6, v7, vcc
	v_cndmask_b32_e32 v7, v5, v0, vcc
	v_cmp_ne_u64_e32 vcc, 0, v[7:8]
	s_and_saveexec_b64 s[2:3], vcc
	s_cbranch_execz .LBB0_416
; %bb.390:
	s_mov_b32 s6, 0x10001
	s_mov_b32 s7, 0xfffeffff
	v_cmp_gt_u64_e32 vcc, s[6:7], v[7:8]
	v_mov_b32_e32 v0, 0xfffeffff
	v_mov_b32_e32 v9, 0x10001
	v_cndmask_b32_e32 v6, v0, v8, vcc
	v_cndmask_b32_e32 v5, v9, v7, vcc
	v_cmp_lt_u64_e32 vcc, s[6:7], v[7:8]
	s_movk_i32 s12, 0xffc0
	v_cndmask_b32_e32 v11, v9, v7, vcc
	v_cndmask_b32_e32 v0, v0, v8, vcc
	v_add_co_u32_e32 v12, vcc, -1, v11
	v_mov_b32_e32 v9, 0
	v_not_b32_e32 v8, v0
	v_not_b32_e32 v7, v11
	v_addc_co_u32_e32 v13, vcc, 0, v0, vcc
	v_mov_b32_e32 v10, 0
	s_mov_b64 s[6:7], 60
	s_branch .LBB0_393
.LBB0_391:                              ;   in Loop: Header=BB0_393 Depth=1
	s_or_b64 exec, exec, s[10:11]
.LBB0_392:                              ;   in Loop: Header=BB0_393 Depth=1
	s_or_b64 exec, exec, s[8:9]
	v_add_co_u32_e32 v14, vcc, -1, v9
	v_addc_co_u32_e32 v15, vcc, 0, v10, vcc
	s_add_i32 s12, s12, 4
	v_cmp_gt_u64_e32 vcc, s[0:1], v[9:10]
	s_add_u32 s6, s6, -4
	s_addc_u32 s7, s7, -1
	v_cndmask_b32_e32 v10, v15, v10, vcc
	s_cmp_lg_u32 s12, 0
	v_cndmask_b32_e32 v9, v14, v9, vcc
	s_cbranch_scc0 .LBB0_416
.LBB0_393:                              ; =>This Inner Loop Header: Depth=1
	v_lshlrev_b64 v[14:15], 1, v[9:10]
	s_add_i32 s8, s6, 3
	v_add_co_u32_e32 v17, vcc, -1, v14
	v_addc_co_u32_e32 v16, vcc, 0, v15, vcc
	v_cmp_gt_i64_e32 vcc, 0, v[9:10]
	v_cndmask_b32_e32 v10, v15, v16, vcc
	v_lshrrev_b64 v[15:16], s8, v[5:6]
	v_cndmask_b32_e32 v9, v14, v17, vcc
	v_and_b32_e32 v14, 1, v15
	v_cmp_eq_u32_e32 vcc, 1, v14
	s_and_saveexec_b64 s[8:9], vcc
	s_cbranch_execz .LBB0_399
; %bb.394:                              ;   in Loop: Header=BB0_393 Depth=1
	v_cmp_le_u64_e32 vcc, v[9:10], v[7:8]
	s_and_saveexec_b64 s[10:11], vcc
	s_xor_b64 s[10:11], exec, s[10:11]
; %bb.395:                              ;   in Loop: Header=BB0_393 Depth=1
	v_add_co_u32_e32 v9, vcc, v9, v11
	v_addc_co_u32_e32 v10, vcc, v10, v0, vcc
; %bb.396:                              ;   in Loop: Header=BB0_393 Depth=1
	s_andn2_saveexec_b64 s[10:11], s[10:11]
; %bb.397:                              ;   in Loop: Header=BB0_393 Depth=1
	v_add_co_u32_e32 v9, vcc, v12, v9
	v_addc_co_u32_e32 v10, vcc, v13, v10, vcc
; %bb.398:                              ;   in Loop: Header=BB0_393 Depth=1
	s_or_b64 exec, exec, s[10:11]
.LBB0_399:                              ;   in Loop: Header=BB0_393 Depth=1
	s_or_b64 exec, exec, s[8:9]
	v_add_co_u32_e32 v14, vcc, -1, v9
	v_addc_co_u32_e32 v15, vcc, 0, v10, vcc
	v_cmp_gt_u64_e32 vcc, s[0:1], v[9:10]
	s_add_i32 s8, s6, 2
	v_cndmask_b32_e32 v10, v15, v10, vcc
	v_cndmask_b32_e32 v9, v14, v9, vcc
	v_lshlrev_b64 v[14:15], 1, v[9:10]
	v_add_co_u32_e32 v17, vcc, -1, v14
	v_addc_co_u32_e32 v16, vcc, 0, v15, vcc
	v_cmp_gt_i64_e32 vcc, 0, v[9:10]
	v_cndmask_b32_e32 v10, v15, v16, vcc
	v_lshrrev_b64 v[15:16], s8, v[5:6]
	v_cndmask_b32_e32 v9, v14, v17, vcc
	v_and_b32_e32 v14, 1, v15
	v_cmp_eq_u32_e32 vcc, 1, v14
	s_and_saveexec_b64 s[8:9], vcc
	s_cbranch_execz .LBB0_405
; %bb.400:                              ;   in Loop: Header=BB0_393 Depth=1
	v_cmp_le_u64_e32 vcc, v[9:10], v[7:8]
	s_and_saveexec_b64 s[10:11], vcc
	s_xor_b64 s[10:11], exec, s[10:11]
; %bb.401:                              ;   in Loop: Header=BB0_393 Depth=1
	v_add_co_u32_e32 v9, vcc, v9, v11
	v_addc_co_u32_e32 v10, vcc, v10, v0, vcc
; %bb.402:                              ;   in Loop: Header=BB0_393 Depth=1
	s_andn2_saveexec_b64 s[10:11], s[10:11]
; %bb.403:                              ;   in Loop: Header=BB0_393 Depth=1
	v_add_co_u32_e32 v9, vcc, v12, v9
	v_addc_co_u32_e32 v10, vcc, v13, v10, vcc
; %bb.404:                              ;   in Loop: Header=BB0_393 Depth=1
	s_or_b64 exec, exec, s[10:11]
.LBB0_405:                              ;   in Loop: Header=BB0_393 Depth=1
	s_or_b64 exec, exec, s[8:9]
	v_add_co_u32_e32 v14, vcc, -1, v9
	v_addc_co_u32_e32 v15, vcc, 0, v10, vcc
	v_cmp_gt_u64_e32 vcc, s[0:1], v[9:10]
	s_add_i32 s8, s6, 1
	v_cndmask_b32_e32 v10, v15, v10, vcc
	v_cndmask_b32_e32 v9, v14, v9, vcc
	v_lshlrev_b64 v[14:15], 1, v[9:10]
	v_add_co_u32_e32 v17, vcc, -1, v14
	v_addc_co_u32_e32 v16, vcc, 0, v15, vcc
	v_cmp_gt_i64_e32 vcc, 0, v[9:10]
	v_cndmask_b32_e32 v10, v15, v16, vcc
	v_lshrrev_b64 v[15:16], s8, v[5:6]
	v_cndmask_b32_e32 v9, v14, v17, vcc
	v_and_b32_e32 v14, 1, v15
	v_cmp_eq_u32_e32 vcc, 1, v14
	s_and_saveexec_b64 s[8:9], vcc
	s_cbranch_execz .LBB0_411
; %bb.406:                              ;   in Loop: Header=BB0_393 Depth=1
	v_cmp_le_u64_e32 vcc, v[9:10], v[7:8]
	s_and_saveexec_b64 s[10:11], vcc
	s_xor_b64 s[10:11], exec, s[10:11]
; %bb.407:                              ;   in Loop: Header=BB0_393 Depth=1
	v_add_co_u32_e32 v9, vcc, v9, v11
	v_addc_co_u32_e32 v10, vcc, v10, v0, vcc
; %bb.408:                              ;   in Loop: Header=BB0_393 Depth=1
	s_andn2_saveexec_b64 s[10:11], s[10:11]
; %bb.409:                              ;   in Loop: Header=BB0_393 Depth=1
	v_add_co_u32_e32 v9, vcc, v12, v9
	v_addc_co_u32_e32 v10, vcc, v13, v10, vcc
; %bb.410:                              ;   in Loop: Header=BB0_393 Depth=1
	s_or_b64 exec, exec, s[10:11]
.LBB0_411:                              ;   in Loop: Header=BB0_393 Depth=1
	s_or_b64 exec, exec, s[8:9]
	v_add_co_u32_e32 v14, vcc, -1, v9
	v_addc_co_u32_e32 v15, vcc, 0, v10, vcc
	v_cmp_gt_u64_e32 vcc, s[0:1], v[9:10]
	v_cndmask_b32_e32 v10, v15, v10, vcc
	v_cndmask_b32_e32 v9, v14, v9, vcc
	v_lshlrev_b64 v[14:15], 1, v[9:10]
	v_add_co_u32_e32 v17, vcc, -1, v14
	v_addc_co_u32_e32 v16, vcc, 0, v15, vcc
	v_cmp_gt_i64_e32 vcc, 0, v[9:10]
	v_cndmask_b32_e32 v10, v15, v16, vcc
	v_lshrrev_b64 v[15:16], s6, v[5:6]
	v_cndmask_b32_e32 v9, v14, v17, vcc
	v_and_b32_e32 v14, 1, v15
	v_cmp_eq_u32_e32 vcc, 1, v14
	s_and_saveexec_b64 s[8:9], vcc
	s_cbranch_execz .LBB0_392
; %bb.412:                              ;   in Loop: Header=BB0_393 Depth=1
	v_cmp_le_u64_e32 vcc, v[9:10], v[7:8]
	s_and_saveexec_b64 s[10:11], vcc
	s_xor_b64 s[10:11], exec, s[10:11]
; %bb.413:                              ;   in Loop: Header=BB0_393 Depth=1
	v_add_co_u32_e32 v9, vcc, v9, v11
	v_addc_co_u32_e32 v10, vcc, v10, v0, vcc
; %bb.414:                              ;   in Loop: Header=BB0_393 Depth=1
	s_andn2_saveexec_b64 s[10:11], s[10:11]
	s_cbranch_execz .LBB0_391
; %bb.415:                              ;   in Loop: Header=BB0_393 Depth=1
	v_add_co_u32_e32 v9, vcc, v12, v9
	v_addc_co_u32_e32 v10, vcc, v13, v10, vcc
	s_branch .LBB0_391
.LBB0_416:
	s_or_b64 exec, exec, s[2:3]
	s_waitcnt lgkmcnt(0)
	v_add_co_u32_e32 v5, vcc, v3, v1
	v_addc_co_u32_e32 v6, vcc, v4, v2, vcc
	v_add_co_u32_e32 v0, vcc, -1, v5
	v_addc_co_u32_e32 v7, vcc, 0, v6, vcc
	v_cmp_lt_u64_e32 vcc, v[5:6], v[3:4]
	s_mov_b32 s1, -1
	v_cndmask_b32_e32 v5, v5, v0, vcc
	v_cndmask_b32_e32 v6, v6, v7, vcc
	v_add_co_u32_e32 v0, vcc, -1, v5
	s_mov_b32 s0, 0
	v_addc_co_u32_e32 v7, vcc, 0, v6, vcc
	v_cmp_lt_u64_e32 vcc, s[0:1], v[5:6]
	v_cndmask_b32_e32 v5, v5, v0, vcc
	v_mov_b32_e32 v0, 0x20008
	v_lshl_or_b32 v0, v20, 2, v0
	v_cndmask_b32_e32 v6, v6, v7, vcc
	global_store_dword v0, v9, s[4:5]
	v_add_co_u32_e32 v0, vcc, -1, v5
	v_addc_co_u32_e32 v7, vcc, 0, v6, vcc
	v_cmp_lt_u64_e32 vcc, s[0:1], v[5:6]
	v_mov_b32_e32 v9, 0
	v_cndmask_b32_e32 v8, v6, v7, vcc
	v_cndmask_b32_e32 v7, v5, v0, vcc
	v_cmp_ne_u64_e32 vcc, 0, v[7:8]
	s_and_saveexec_b64 s[2:3], vcc
	s_cbranch_execz .LBB0_443
; %bb.417:
	s_mov_b32 s6, 0x10001
	s_mov_b32 s7, 0xfffeffff
	v_cmp_gt_u64_e32 vcc, s[6:7], v[7:8]
	v_mov_b32_e32 v0, 0xfffeffff
	v_mov_b32_e32 v9, 0x10001
	v_cndmask_b32_e32 v6, v0, v8, vcc
	v_cndmask_b32_e32 v5, v9, v7, vcc
	v_cmp_lt_u64_e32 vcc, s[6:7], v[7:8]
	s_movk_i32 s12, 0xffc0
	v_cndmask_b32_e32 v11, v9, v7, vcc
	v_cndmask_b32_e32 v0, v0, v8, vcc
	v_add_co_u32_e32 v12, vcc, -1, v11
	v_mov_b32_e32 v9, 0
	v_not_b32_e32 v8, v0
	v_not_b32_e32 v7, v11
	v_addc_co_u32_e32 v13, vcc, 0, v0, vcc
	v_mov_b32_e32 v10, 0
	s_mov_b64 s[6:7], 60
	s_mov_b32 s0, 1
	s_branch .LBB0_420
.LBB0_418:                              ;   in Loop: Header=BB0_420 Depth=1
	s_or_b64 exec, exec, s[10:11]
.LBB0_419:                              ;   in Loop: Header=BB0_420 Depth=1
	s_or_b64 exec, exec, s[8:9]
	v_add_co_u32_e32 v14, vcc, -1, v9
	v_addc_co_u32_e32 v15, vcc, 0, v10, vcc
	s_add_i32 s12, s12, 4
	v_cmp_gt_u64_e32 vcc, s[0:1], v[9:10]
	s_add_u32 s6, s6, -4
	s_addc_u32 s7, s7, -1
	v_cndmask_b32_e32 v10, v15, v10, vcc
	s_cmp_lg_u32 s12, 0
	v_cndmask_b32_e32 v9, v14, v9, vcc
	s_cbranch_scc0 .LBB0_443
.LBB0_420:                              ; =>This Inner Loop Header: Depth=1
	v_lshlrev_b64 v[14:15], 1, v[9:10]
	s_add_i32 s8, s6, 3
	v_add_co_u32_e32 v17, vcc, -1, v14
	v_addc_co_u32_e32 v16, vcc, 0, v15, vcc
	v_cmp_gt_i64_e32 vcc, 0, v[9:10]
	v_cndmask_b32_e32 v10, v15, v16, vcc
	v_lshrrev_b64 v[15:16], s8, v[5:6]
	v_cndmask_b32_e32 v9, v14, v17, vcc
	v_and_b32_e32 v14, 1, v15
	v_cmp_eq_u32_e32 vcc, 1, v14
	s_and_saveexec_b64 s[8:9], vcc
	s_cbranch_execz .LBB0_426
; %bb.421:                              ;   in Loop: Header=BB0_420 Depth=1
	v_cmp_le_u64_e32 vcc, v[9:10], v[7:8]
	s_and_saveexec_b64 s[10:11], vcc
	s_xor_b64 s[10:11], exec, s[10:11]
; %bb.422:                              ;   in Loop: Header=BB0_420 Depth=1
	v_add_co_u32_e32 v9, vcc, v9, v11
	v_addc_co_u32_e32 v10, vcc, v10, v0, vcc
; %bb.423:                              ;   in Loop: Header=BB0_420 Depth=1
	s_andn2_saveexec_b64 s[10:11], s[10:11]
; %bb.424:                              ;   in Loop: Header=BB0_420 Depth=1
	v_add_co_u32_e32 v9, vcc, v12, v9
	v_addc_co_u32_e32 v10, vcc, v13, v10, vcc
; %bb.425:                              ;   in Loop: Header=BB0_420 Depth=1
	s_or_b64 exec, exec, s[10:11]
.LBB0_426:                              ;   in Loop: Header=BB0_420 Depth=1
	s_or_b64 exec, exec, s[8:9]
	v_add_co_u32_e32 v14, vcc, -1, v9
	v_addc_co_u32_e32 v15, vcc, 0, v10, vcc
	v_cmp_gt_u64_e32 vcc, s[0:1], v[9:10]
	s_add_i32 s8, s6, 2
	v_cndmask_b32_e32 v10, v15, v10, vcc
	v_cndmask_b32_e32 v9, v14, v9, vcc
	v_lshlrev_b64 v[14:15], 1, v[9:10]
	v_add_co_u32_e32 v17, vcc, -1, v14
	v_addc_co_u32_e32 v16, vcc, 0, v15, vcc
	v_cmp_gt_i64_e32 vcc, 0, v[9:10]
	v_cndmask_b32_e32 v10, v15, v16, vcc
	v_lshrrev_b64 v[15:16], s8, v[5:6]
	v_cndmask_b32_e32 v9, v14, v17, vcc
	v_and_b32_e32 v14, 1, v15
	v_cmp_eq_u32_e32 vcc, 1, v14
	s_and_saveexec_b64 s[8:9], vcc
	s_cbranch_execz .LBB0_432
; %bb.427:                              ;   in Loop: Header=BB0_420 Depth=1
	v_cmp_le_u64_e32 vcc, v[9:10], v[7:8]
	s_and_saveexec_b64 s[10:11], vcc
	s_xor_b64 s[10:11], exec, s[10:11]
; %bb.428:                              ;   in Loop: Header=BB0_420 Depth=1
	v_add_co_u32_e32 v9, vcc, v9, v11
	v_addc_co_u32_e32 v10, vcc, v10, v0, vcc
; %bb.429:                              ;   in Loop: Header=BB0_420 Depth=1
	s_andn2_saveexec_b64 s[10:11], s[10:11]
; %bb.430:                              ;   in Loop: Header=BB0_420 Depth=1
	v_add_co_u32_e32 v9, vcc, v12, v9
	v_addc_co_u32_e32 v10, vcc, v13, v10, vcc
; %bb.431:                              ;   in Loop: Header=BB0_420 Depth=1
	s_or_b64 exec, exec, s[10:11]
.LBB0_432:                              ;   in Loop: Header=BB0_420 Depth=1
	s_or_b64 exec, exec, s[8:9]
	v_add_co_u32_e32 v14, vcc, -1, v9
	v_addc_co_u32_e32 v15, vcc, 0, v10, vcc
	v_cmp_gt_u64_e32 vcc, s[0:1], v[9:10]
	s_add_i32 s8, s6, 1
	v_cndmask_b32_e32 v10, v15, v10, vcc
	v_cndmask_b32_e32 v9, v14, v9, vcc
	v_lshlrev_b64 v[14:15], 1, v[9:10]
	v_add_co_u32_e32 v17, vcc, -1, v14
	v_addc_co_u32_e32 v16, vcc, 0, v15, vcc
	v_cmp_gt_i64_e32 vcc, 0, v[9:10]
	v_cndmask_b32_e32 v10, v15, v16, vcc
	v_lshrrev_b64 v[15:16], s8, v[5:6]
	v_cndmask_b32_e32 v9, v14, v17, vcc
	v_and_b32_e32 v14, 1, v15
	v_cmp_eq_u32_e32 vcc, 1, v14
	s_and_saveexec_b64 s[8:9], vcc
	s_cbranch_execz .LBB0_438
; %bb.433:                              ;   in Loop: Header=BB0_420 Depth=1
	v_cmp_le_u64_e32 vcc, v[9:10], v[7:8]
	s_and_saveexec_b64 s[10:11], vcc
	s_xor_b64 s[10:11], exec, s[10:11]
; %bb.434:                              ;   in Loop: Header=BB0_420 Depth=1
	v_add_co_u32_e32 v9, vcc, v9, v11
	v_addc_co_u32_e32 v10, vcc, v10, v0, vcc
; %bb.435:                              ;   in Loop: Header=BB0_420 Depth=1
	s_andn2_saveexec_b64 s[10:11], s[10:11]
; %bb.436:                              ;   in Loop: Header=BB0_420 Depth=1
	v_add_co_u32_e32 v9, vcc, v12, v9
	v_addc_co_u32_e32 v10, vcc, v13, v10, vcc
; %bb.437:                              ;   in Loop: Header=BB0_420 Depth=1
	s_or_b64 exec, exec, s[10:11]
.LBB0_438:                              ;   in Loop: Header=BB0_420 Depth=1
	s_or_b64 exec, exec, s[8:9]
	v_add_co_u32_e32 v14, vcc, -1, v9
	v_addc_co_u32_e32 v15, vcc, 0, v10, vcc
	v_cmp_gt_u64_e32 vcc, s[0:1], v[9:10]
	v_cndmask_b32_e32 v10, v15, v10, vcc
	v_cndmask_b32_e32 v9, v14, v9, vcc
	v_lshlrev_b64 v[14:15], 1, v[9:10]
	v_add_co_u32_e32 v17, vcc, -1, v14
	v_addc_co_u32_e32 v16, vcc, 0, v15, vcc
	v_cmp_gt_i64_e32 vcc, 0, v[9:10]
	v_cndmask_b32_e32 v10, v15, v16, vcc
	v_lshrrev_b64 v[15:16], s6, v[5:6]
	v_cndmask_b32_e32 v9, v14, v17, vcc
	v_and_b32_e32 v14, 1, v15
	v_cmp_eq_u32_e32 vcc, 1, v14
	s_and_saveexec_b64 s[8:9], vcc
	s_cbranch_execz .LBB0_419
; %bb.439:                              ;   in Loop: Header=BB0_420 Depth=1
	v_cmp_le_u64_e32 vcc, v[9:10], v[7:8]
	s_and_saveexec_b64 s[10:11], vcc
	s_xor_b64 s[10:11], exec, s[10:11]
; %bb.440:                              ;   in Loop: Header=BB0_420 Depth=1
	v_add_co_u32_e32 v9, vcc, v9, v11
	v_addc_co_u32_e32 v10, vcc, v10, v0, vcc
; %bb.441:                              ;   in Loop: Header=BB0_420 Depth=1
	s_andn2_saveexec_b64 s[10:11], s[10:11]
	s_cbranch_execz .LBB0_418
; %bb.442:                              ;   in Loop: Header=BB0_420 Depth=1
	v_add_co_u32_e32 v9, vcc, v12, v9
	v_addc_co_u32_e32 v10, vcc, v13, v10, vcc
	s_branch .LBB0_418
.LBB0_443:
	s_or_b64 exec, exec, s[2:3]
	v_sub_co_u32_e32 v0, vcc, v1, v3
	v_subb_co_u32_e32 v5, vcc, v2, v4, vcc
	v_add_co_u32_e32 v6, vcc, 1, v0
	v_addc_co_u32_e32 v7, vcc, -1, v5, vcc
	v_cmp_lt_u64_e32 vcc, v[1:2], v[3:4]
	s_mov_b32 s0, 1
	v_cndmask_b32_e32 v0, v0, v6, vcc
	v_lshl_or_b32 v2, v19, 2, 12
	s_mov_b32 s1, -1
	v_cndmask_b32_e32 v1, v5, v7, vcc
	global_store_dword v2, v9, s[4:5]
	v_add_co_u32_e32 v2, vcc, -1, v0
	s_mov_b32 s2, 0
	s_mov_b32 s3, s1
	v_addc_co_u32_e32 v3, vcc, 0, v1, vcc
	v_cmp_lt_u64_e32 vcc, s[2:3], v[0:1]
	v_mov_b32_e32 v4, 0
	v_cndmask_b32_e32 v3, v1, v3, vcc
	v_cndmask_b32_e32 v2, v0, v2, vcc
	v_cmp_ne_u64_e32 vcc, 0, v[2:3]
	s_and_saveexec_b64 s[2:3], vcc
	s_cbranch_execz .LBB0_470
; %bb.444:
	s_mov_b32 s6, 0x10001
	s_mov_b32 s7, 0xfffeffff
	v_cmp_gt_u64_e32 vcc, s[6:7], v[2:3]
	v_mov_b32_e32 v4, 0xfffeffff
	v_mov_b32_e32 v5, 0x10001
	v_cndmask_b32_e32 v1, v4, v3, vcc
	v_cndmask_b32_e32 v0, v5, v2, vcc
	v_cmp_lt_u64_e32 vcc, s[6:7], v[2:3]
	s_movk_i32 s12, 0xffc0
	v_cndmask_b32_e32 v7, v5, v2, vcc
	v_cndmask_b32_e32 v6, v4, v3, vcc
	v_add_co_u32_e32 v8, vcc, -1, v7
	v_mov_b32_e32 v4, 0
	v_not_b32_e32 v3, v6
	v_not_b32_e32 v2, v7
	v_addc_co_u32_e32 v9, vcc, 0, v6, vcc
	v_mov_b32_e32 v5, 0
	s_mov_b64 s[6:7], 60
	s_branch .LBB0_447
.LBB0_445:                              ;   in Loop: Header=BB0_447 Depth=1
	s_or_b64 exec, exec, s[10:11]
.LBB0_446:                              ;   in Loop: Header=BB0_447 Depth=1
	s_or_b64 exec, exec, s[8:9]
	v_add_co_u32_e32 v10, vcc, -1, v4
	v_addc_co_u32_e32 v11, vcc, 0, v5, vcc
	s_add_i32 s12, s12, 4
	v_cmp_gt_u64_e32 vcc, s[0:1], v[4:5]
	s_add_u32 s6, s6, -4
	s_addc_u32 s7, s7, -1
	v_cndmask_b32_e32 v5, v11, v5, vcc
	s_cmp_lg_u32 s12, 0
	v_cndmask_b32_e32 v4, v10, v4, vcc
	s_cbranch_scc0 .LBB0_470
.LBB0_447:                              ; =>This Inner Loop Header: Depth=1
	v_lshlrev_b64 v[10:11], 1, v[4:5]
	s_add_i32 s8, s6, 3
	v_add_co_u32_e32 v13, vcc, -1, v10
	v_addc_co_u32_e32 v12, vcc, 0, v11, vcc
	v_cmp_gt_i64_e32 vcc, 0, v[4:5]
	v_cndmask_b32_e32 v5, v11, v12, vcc
	v_lshrrev_b64 v[11:12], s8, v[0:1]
	v_cndmask_b32_e32 v4, v10, v13, vcc
	v_and_b32_e32 v10, 1, v11
	v_cmp_eq_u32_e32 vcc, 1, v10
	s_and_saveexec_b64 s[8:9], vcc
	s_cbranch_execz .LBB0_453
; %bb.448:                              ;   in Loop: Header=BB0_447 Depth=1
	v_cmp_le_u64_e32 vcc, v[4:5], v[2:3]
	s_and_saveexec_b64 s[10:11], vcc
	s_xor_b64 s[10:11], exec, s[10:11]
; %bb.449:                              ;   in Loop: Header=BB0_447 Depth=1
	v_add_co_u32_e32 v4, vcc, v4, v7
	v_addc_co_u32_e32 v5, vcc, v5, v6, vcc
; %bb.450:                              ;   in Loop: Header=BB0_447 Depth=1
	s_andn2_saveexec_b64 s[10:11], s[10:11]
; %bb.451:                              ;   in Loop: Header=BB0_447 Depth=1
	v_add_co_u32_e32 v4, vcc, v8, v4
	v_addc_co_u32_e32 v5, vcc, v9, v5, vcc
; %bb.452:                              ;   in Loop: Header=BB0_447 Depth=1
	s_or_b64 exec, exec, s[10:11]
.LBB0_453:                              ;   in Loop: Header=BB0_447 Depth=1
	s_or_b64 exec, exec, s[8:9]
	v_add_co_u32_e32 v10, vcc, -1, v4
	v_addc_co_u32_e32 v11, vcc, 0, v5, vcc
	v_cmp_gt_u64_e32 vcc, s[0:1], v[4:5]
	s_add_i32 s8, s6, 2
	v_cndmask_b32_e32 v5, v11, v5, vcc
	v_cndmask_b32_e32 v4, v10, v4, vcc
	v_lshlrev_b64 v[10:11], 1, v[4:5]
	v_add_co_u32_e32 v13, vcc, -1, v10
	v_addc_co_u32_e32 v12, vcc, 0, v11, vcc
	v_cmp_gt_i64_e32 vcc, 0, v[4:5]
	v_cndmask_b32_e32 v5, v11, v12, vcc
	v_lshrrev_b64 v[11:12], s8, v[0:1]
	v_cndmask_b32_e32 v4, v10, v13, vcc
	v_and_b32_e32 v10, 1, v11
	v_cmp_eq_u32_e32 vcc, 1, v10
	s_and_saveexec_b64 s[8:9], vcc
	s_cbranch_execz .LBB0_459
; %bb.454:                              ;   in Loop: Header=BB0_447 Depth=1
	v_cmp_le_u64_e32 vcc, v[4:5], v[2:3]
	s_and_saveexec_b64 s[10:11], vcc
	s_xor_b64 s[10:11], exec, s[10:11]
; %bb.455:                              ;   in Loop: Header=BB0_447 Depth=1
	v_add_co_u32_e32 v4, vcc, v4, v7
	v_addc_co_u32_e32 v5, vcc, v5, v6, vcc
; %bb.456:                              ;   in Loop: Header=BB0_447 Depth=1
	s_andn2_saveexec_b64 s[10:11], s[10:11]
; %bb.457:                              ;   in Loop: Header=BB0_447 Depth=1
	v_add_co_u32_e32 v4, vcc, v8, v4
	v_addc_co_u32_e32 v5, vcc, v9, v5, vcc
; %bb.458:                              ;   in Loop: Header=BB0_447 Depth=1
	s_or_b64 exec, exec, s[10:11]
.LBB0_459:                              ;   in Loop: Header=BB0_447 Depth=1
	s_or_b64 exec, exec, s[8:9]
	v_add_co_u32_e32 v10, vcc, -1, v4
	v_addc_co_u32_e32 v11, vcc, 0, v5, vcc
	v_cmp_gt_u64_e32 vcc, s[0:1], v[4:5]
	s_add_i32 s8, s6, 1
	v_cndmask_b32_e32 v5, v11, v5, vcc
	v_cndmask_b32_e32 v4, v10, v4, vcc
	v_lshlrev_b64 v[10:11], 1, v[4:5]
	v_add_co_u32_e32 v13, vcc, -1, v10
	v_addc_co_u32_e32 v12, vcc, 0, v11, vcc
	v_cmp_gt_i64_e32 vcc, 0, v[4:5]
	v_cndmask_b32_e32 v5, v11, v12, vcc
	v_lshrrev_b64 v[11:12], s8, v[0:1]
	v_cndmask_b32_e32 v4, v10, v13, vcc
	v_and_b32_e32 v10, 1, v11
	v_cmp_eq_u32_e32 vcc, 1, v10
	s_and_saveexec_b64 s[8:9], vcc
	s_cbranch_execz .LBB0_465
; %bb.460:                              ;   in Loop: Header=BB0_447 Depth=1
	v_cmp_le_u64_e32 vcc, v[4:5], v[2:3]
	s_and_saveexec_b64 s[10:11], vcc
	s_xor_b64 s[10:11], exec, s[10:11]
; %bb.461:                              ;   in Loop: Header=BB0_447 Depth=1
	v_add_co_u32_e32 v4, vcc, v4, v7
	v_addc_co_u32_e32 v5, vcc, v5, v6, vcc
; %bb.462:                              ;   in Loop: Header=BB0_447 Depth=1
	s_andn2_saveexec_b64 s[10:11], s[10:11]
; %bb.463:                              ;   in Loop: Header=BB0_447 Depth=1
	v_add_co_u32_e32 v4, vcc, v8, v4
	v_addc_co_u32_e32 v5, vcc, v9, v5, vcc
; %bb.464:                              ;   in Loop: Header=BB0_447 Depth=1
	s_or_b64 exec, exec, s[10:11]
.LBB0_465:                              ;   in Loop: Header=BB0_447 Depth=1
	s_or_b64 exec, exec, s[8:9]
	v_add_co_u32_e32 v10, vcc, -1, v4
	v_addc_co_u32_e32 v11, vcc, 0, v5, vcc
	v_cmp_gt_u64_e32 vcc, s[0:1], v[4:5]
	v_cndmask_b32_e32 v5, v11, v5, vcc
	v_cndmask_b32_e32 v4, v10, v4, vcc
	v_lshlrev_b64 v[10:11], 1, v[4:5]
	v_add_co_u32_e32 v13, vcc, -1, v10
	v_addc_co_u32_e32 v12, vcc, 0, v11, vcc
	v_cmp_gt_i64_e32 vcc, 0, v[4:5]
	v_cndmask_b32_e32 v5, v11, v12, vcc
	v_lshrrev_b64 v[11:12], s6, v[0:1]
	v_cndmask_b32_e32 v4, v10, v13, vcc
	v_and_b32_e32 v10, 1, v11
	v_cmp_eq_u32_e32 vcc, 1, v10
	s_and_saveexec_b64 s[8:9], vcc
	s_cbranch_execz .LBB0_446
; %bb.466:                              ;   in Loop: Header=BB0_447 Depth=1
	v_cmp_le_u64_e32 vcc, v[4:5], v[2:3]
	s_and_saveexec_b64 s[10:11], vcc
	s_xor_b64 s[10:11], exec, s[10:11]
; %bb.467:                              ;   in Loop: Header=BB0_447 Depth=1
	v_add_co_u32_e32 v4, vcc, v4, v7
	v_addc_co_u32_e32 v5, vcc, v5, v6, vcc
; %bb.468:                              ;   in Loop: Header=BB0_447 Depth=1
	s_andn2_saveexec_b64 s[10:11], s[10:11]
	s_cbranch_execz .LBB0_445
; %bb.469:                              ;   in Loop: Header=BB0_447 Depth=1
	v_add_co_u32_e32 v4, vcc, v8, v4
	v_addc_co_u32_e32 v5, vcc, v9, v5, vcc
	s_branch .LBB0_445
.LBB0_470:
	s_or_b64 exec, exec, s[2:3]
	v_mov_b32_e32 v0, 0x2000c
	v_lshl_or_b32 v0, v20, 2, v0
	global_store_dword v0, v4, s[4:5]
	s_endpgm
	.section	.rodata,"a",@progbits
	.p2align	6, 0x0
	.amdhsa_kernel _Z17intt_3_64k_modcrtPjPKm
		.amdhsa_group_segment_fixed_size 4096
		.amdhsa_private_segment_fixed_size 0
		.amdhsa_kernarg_size 16
		.amdhsa_user_sgpr_count 6
		.amdhsa_user_sgpr_private_segment_buffer 1
		.amdhsa_user_sgpr_dispatch_ptr 0
		.amdhsa_user_sgpr_queue_ptr 0
		.amdhsa_user_sgpr_kernarg_segment_ptr 1
		.amdhsa_user_sgpr_dispatch_id 0
		.amdhsa_user_sgpr_flat_scratch_init 0
		.amdhsa_user_sgpr_private_segment_size 0
		.amdhsa_uses_dynamic_stack 0
		.amdhsa_system_sgpr_private_segment_wavefront_offset 0
		.amdhsa_system_sgpr_workgroup_id_x 1
		.amdhsa_system_sgpr_workgroup_id_y 0
		.amdhsa_system_sgpr_workgroup_id_z 0
		.amdhsa_system_sgpr_workgroup_info 0
		.amdhsa_system_vgpr_workitem_id 0
		.amdhsa_next_free_vgpr 35
		.amdhsa_next_free_sgpr 61
		.amdhsa_reserve_vcc 1
		.amdhsa_reserve_flat_scratch 0
		.amdhsa_float_round_mode_32 0
		.amdhsa_float_round_mode_16_64 0
		.amdhsa_float_denorm_mode_32 3
		.amdhsa_float_denorm_mode_16_64 3
		.amdhsa_dx10_clamp 1
		.amdhsa_ieee_mode 1
		.amdhsa_fp16_overflow 0
		.amdhsa_exception_fp_ieee_invalid_op 0
		.amdhsa_exception_fp_denorm_src 0
		.amdhsa_exception_fp_ieee_div_zero 0
		.amdhsa_exception_fp_ieee_overflow 0
		.amdhsa_exception_fp_ieee_underflow 0
		.amdhsa_exception_fp_ieee_inexact 0
		.amdhsa_exception_int_div_zero 0
	.end_amdhsa_kernel
	.text
.Lfunc_end0:
	.size	_Z17intt_3_64k_modcrtPjPKm, .Lfunc_end0-_Z17intt_3_64k_modcrtPjPKm
                                        ; -- End function
	.set _Z17intt_3_64k_modcrtPjPKm.num_vgpr, 35
	.set _Z17intt_3_64k_modcrtPjPKm.num_agpr, 0
	.set _Z17intt_3_64k_modcrtPjPKm.numbered_sgpr, 19
	.set _Z17intt_3_64k_modcrtPjPKm.num_named_barrier, 0
	.set _Z17intt_3_64k_modcrtPjPKm.private_seg_size, 0
	.set _Z17intt_3_64k_modcrtPjPKm.uses_vcc, 1
	.set _Z17intt_3_64k_modcrtPjPKm.uses_flat_scratch, 0
	.set _Z17intt_3_64k_modcrtPjPKm.has_dyn_sized_stack, 0
	.set _Z17intt_3_64k_modcrtPjPKm.has_recursion, 0
	.set _Z17intt_3_64k_modcrtPjPKm.has_indirect_call, 0
	.section	.AMDGPU.csdata,"",@progbits
; Kernel info:
; codeLenInByte = 12352
; TotalNumSgprs: 23
; NumVgprs: 35
; ScratchSize: 0
; MemoryBound: 0
; FloatMode: 240
; IeeeMode: 1
; LDSByteSize: 4096 bytes/workgroup (compile time only)
; SGPRBlocks: 8
; VGPRBlocks: 8
; NumSGPRsForWavesPerEU: 65
; NumVGPRsForWavesPerEU: 35
; Occupancy: 7
; WaveLimiterHint : 0
; COMPUTE_PGM_RSRC2:SCRATCH_EN: 0
; COMPUTE_PGM_RSRC2:USER_SGPR: 6
; COMPUTE_PGM_RSRC2:TRAP_HANDLER: 0
; COMPUTE_PGM_RSRC2:TGID_X_EN: 1
; COMPUTE_PGM_RSRC2:TGID_Y_EN: 0
; COMPUTE_PGM_RSRC2:TGID_Z_EN: 0
; COMPUTE_PGM_RSRC2:TIDIG_COMP_CNT: 0
	.section	.AMDGPU.gpr_maximums,"",@progbits
	.set amdgpu.max_num_vgpr, 0
	.set amdgpu.max_num_agpr, 0
	.set amdgpu.max_num_sgpr, 0
	.section	.AMDGPU.csdata,"",@progbits
	.type	__hip_cuid_56d6eedca8d02a8b,@object ; @__hip_cuid_56d6eedca8d02a8b
	.section	.bss,"aw",@nobits
	.globl	__hip_cuid_56d6eedca8d02a8b
__hip_cuid_56d6eedca8d02a8b:
	.byte	0                               ; 0x0
	.size	__hip_cuid_56d6eedca8d02a8b, 1

	.ident	"AMD clang version 22.0.0git (https://github.com/RadeonOpenCompute/llvm-project roc-7.2.4 26084 f58b06dce1f9c15707c5f808fd002e18c2accf7e)"
	.section	".note.GNU-stack","",@progbits
	.addrsig
	.addrsig_sym __hip_cuid_56d6eedca8d02a8b
	.amdgpu_metadata
---
amdhsa.kernels:
  - .args:
      - .actual_access:  write_only
        .address_space:  global
        .offset:         0
        .size:           8
        .value_kind:     global_buffer
      - .actual_access:  read_only
        .address_space:  global
        .offset:         8
        .size:           8
        .value_kind:     global_buffer
    .group_segment_fixed_size: 4096
    .kernarg_segment_align: 8
    .kernarg_segment_size: 16
    .language:       OpenCL C
    .language_version:
      - 2
      - 0
    .max_flat_workgroup_size: 1024
    .name:           _Z17intt_3_64k_modcrtPjPKm
    .private_segment_fixed_size: 0
    .sgpr_count:     23
    .sgpr_spill_count: 0
    .symbol:         _Z17intt_3_64k_modcrtPjPKm.kd
    .uniform_work_group_size: 1
    .uses_dynamic_stack: false
    .vgpr_count:     35
    .vgpr_spill_count: 0
    .wavefront_size: 64
amdhsa.target:   amdgcn-amd-amdhsa--gfx906
amdhsa.version:
  - 1
  - 2
...

	.end_amdgpu_metadata
